;; amdgpu-corpus repo=ROCm/aiter kind=harvested arch=n/a opt=n/a

/root/src/amdgpu-assembly/repos/ROCm__aiter/hsa/gfx950/fmoe_2stages/fmoe_stage1_bf16_pertokenFp8_blockscale_g1u1_96x128_pf2.co:	file format elf64-amdgpu

Disassembly of section .text:

0000000000002a00 <_ZN5aiter55fmoe_stage1_bf16_pertokenFp8_blockscale_g1u1_96x128_pf2E>:
	s_and_b32 s1, s1, 0xffff                                   // 000000002A00: 8601FF01 0000FFFF
	s_load_dwordx2 s[8:9], s[0:1], 0x0                         // 000000002A08: C0060200 00000000
	s_load_dwordx2 s[20:21], s[0:1], 0x10                      // 000000002A10: C0060500 00000010
	s_load_dwordx2 s[24:25], s[0:1], 0x20                      // 000000002A18: C0060600 00000020
	s_load_dwordx2 s[48:49], s[0:1], 0x30                      // 000000002A20: C0060C00 00000030
	s_load_dwordx2 s[28:29], s[0:1], 0x40                      // 000000002A28: C0060700 00000040
	s_load_dwordx2 s[32:33], s[0:1], 0x50                      // 000000002A30: C0060800 00000050
	s_load_dwordx2 s[36:37], s[0:1], 0x60                      // 000000002A38: C0060900 00000060
	s_load_dwordx2 s[12:13], s[0:1], 0x70                      // 000000002A40: C0060300 00000070
	s_load_dwordx2 s[44:45], s[0:1], 0x80                      // 000000002A48: C0060B00 00000080
	s_mov_b32 s89, 0                                           // 000000002A50: BED90080
	s_load_dword s64, s[0:1], 0x90                             // 000000002A54: C0021000 00000090
	s_load_dword s65, s[0:1], 0xa0                             // 000000002A5C: C0021040 000000A0
	s_load_dword s66, s[0:1], 0xb0                             // 000000002A64: C0021080 000000B0
	s_load_dword s67, s[0:1], 0xc0                             // 000000002A6C: C00210C0 000000C0
	s_load_dword s68, s[0:1], 0xd0                             // 000000002A74: C0021100 000000D0
	s_load_dword s69, s[0:1], 0xe0                             // 000000002A7C: C0021140 000000E0
	s_load_dword s71, s[0:1], 0xf0                             // 000000002A84: C00211C0 000000F0
	s_load_dword s72, s[0:1], 0x100                            // 000000002A8C: C0021200 00000100
	s_load_dword s74, s[0:1], 0x110                            // 000000002A94: C0021280 00000110
	s_load_dword s76, s[0:1], 0x120                            // 000000002A9C: C0021300 00000120
	s_load_dword s56, s[0:1], 0x130                            // 000000002AA4: C0020E00 00000130
	s_load_dword s88, s[0:1], 0x140                            // 000000002AAC: C0021600 00000140
	s_load_dword s89, s[0:1], 0x150                            // 000000002AB4: C0021640 00000150
	v_lshrrev_b32_e32 v1, 10, v0                               // 000000002ABC: 2002008A
	v_lshrrev_b32_e32 v2, 10, v1                               // 000000002AC0: 2004028A
	v_and_b32_e32 v2, 0x3ff, v2                                // 000000002AC4: 260404FF 000003FF
	v_and_b32_e32 v1, 0x3ff, v1                                // 000000002ACC: 260202FF 000003FF
	v_and_b32_e32 v0, 0x3ff, v0                                // 000000002AD4: 260000FF 000003FF
	v_lshrrev_b32_e32 v3, 6, v0                                // 000000002ADC: 20060086
	v_and_b32_e32 v0, 63, v0                                   // 000000002AE0: 260000BF
	s_mov_b32 s2, s2                                           // 000000002AE4: BE820002
	s_mov_b32 s3, s3                                           // 000000002AE8: BE830003
	s_mov_b32 s4, s4                                           // 000000002AEC: BE840004
	v_readfirstlane_b32 s7, v3                                 // 000000002AF0: 7E0E0503
	s_waitcnt lgkmcnt(0)                                       // 000000002AF4: BF8CC07F
	s_and_b32 s49, s49, 0xffff                                 // 000000002AF8: 8631FF31 0000FFFF
	s_load_dword s48, s[48:49], 0x0                            // 000000002B00: C0020C18 00000000
	s_and_b32 s45, s45, 0xffff                                 // 000000002B08: 862DFF2D 0000FFFF
	s_and_b32 s9, s9, 0xffff                                   // 000000002B10: 8609FF09 0000FFFF
	s_mul_i32 s60, s66, s68                                    // 000000002B18: 923C4442
	s_mul_i32 s61, s66, 4                                      // 000000002B1C: 923D8442
	s_mov_b32 s22, s60                                         // 000000002B20: BE96003C
	s_mov_b32 s26, -16                                         // 000000002B24: BE9A00D0
	s_mov_b32 s30, s61                                         // 000000002B28: BE9E003D
	s_mov_b32 s14, 0x180                                       // 000000002B2C: BE8E00FF 00000180
	s_mov_b32 s38, -16                                         // 000000002B34: BEA600D0
	s_mov_b32 s10, -16                                         // 000000002B38: BE8A00D0
	s_lshr_b32 s60, s64, 7                                     // 000000002B3C: 8F3C8740
	s_mul_i32 s61, s60, 4                                      // 000000002B40: 923D843C
	s_lshr_b32 s60, s65, 7                                     // 000000002B44: 8F3C8741
	s_add_u32 s60, s60, 1                                      // 000000002B48: 803C813C
	s_mul_i32 s60, s60, s61                                    // 000000002B4C: 923C3D3C
	s_mov_b32 s34, s60                                         // 000000002B50: BEA2003C
	s_mov_b32 s23, 0x20000                                     // 000000002B54: BE9700FF 00020000
	s_mov_b32 s27, 0x20000                                     // 000000002B5C: BE9B00FF 00020000
	s_mov_b32 s31, 0x20000                                     // 000000002B64: BE9F00FF 00020000
	s_mov_b32 s35, 0x20000                                     // 000000002B6C: BEA300FF 00020000
	s_mov_b32 s15, 0x20000                                     // 000000002B74: BE8F00FF 00020000
	s_mov_b32 s39, 0x20000                                     // 000000002B7C: BEA700FF 00020000
	s_mov_b32 s11, 0x20000                                     // 000000002B84: BE8B00FF 00020000
	s_and_b32 s21, s21, 0xffff                                 // 000000002B8C: 8615FF15 0000FFFF
	s_and_b32 s25, s25, 0xffff                                 // 000000002B94: 8619FF19 0000FFFF
	s_and_b32 s29, s29, 0xffff                                 // 000000002B9C: 861DFF1D 0000FFFF
	s_and_b32 s33, s33, 0xffff                                 // 000000002BA4: 8621FF21 0000FFFF
	s_and_b32 s13, s13, 0xffff                                 // 000000002BAC: 860DFF0D 0000FFFF
	s_and_b32 s37, s37, 0xffff                                 // 000000002BB4: 8625FF25 0000FFFF
	s_or_b32 s21, s21, 0x40000                                 // 000000002BBC: 8715FF15 00040000
	s_or_b32 s25, s25, 0x40000                                 // 000000002BC4: 8719FF19 00040000
	s_or_b32 s29, s29, 0x40000                                 // 000000002BCC: 871DFF1D 00040000
	s_or_b32 s33, s33, 0x40000                                 // 000000002BD4: 8721FF21 00040000
	s_or_b32 s13, s13, 0x40000                                 // 000000002BDC: 870DFF0D 00040000
	s_or_b32 s37, s37, 0x40000                                 // 000000002BE4: 8725FF25 00040000
	v_accvgpr_write_b32 a127, 0                                // 000000002BEC: D3D9407F 18000080
	v_mov_b32_e32 v163, 0                                      // 000000002BF4: 7F460280
	s_waitcnt lgkmcnt(0)                                       // 000000002BF8: BF8CC07F
	s_mul_i32 s60, s3, 0x60                                    // 000000002BFC: 923CFF03 00000060
	s_cmp_lt_i32 s60, s48                                      // 000000002C04: BF04303C
	s_cbranch_scc0 label_282C                                  // 000000002C08: BF8427A6
	s_mov_b32 s80, 0                                           // 000000002C0C: BED00080
	s_lshr_b32 s81, s64, s88                                   // 000000002C10: 8F515840
	s_mul_i32 s60, s3, 4                                       // 000000002C14: 923C8403
	s_add_u32 s44, s60, s44                                    // 000000002C18: 802C2C3C
	s_addc_u32 s45, 0, s45                                     // 000000002C1C: 822D2D80
	s_load_dword s5, s[44:45], 0x0                             // 000000002C20: C0020156 00000000
	s_mul_i32 s60, s3, 0x60                                    // 000000002C28: 923CFF03 00000060
	s_mul_i32 s60, 4, s60                                      // 000000002C30: 923C3C84
	s_add_u32 s12, s60, s12                                    // 000000002C34: 800C0C3C
	s_addc_u32 s13, 0, s13                                     // 000000002C38: 820D0D80
	v_and_b32_e32 v4, 15, v0                                   // 000000002C3C: 2608008F
	v_lshlrev_b32_e32 v4, 2, v4                                // 000000002C40: 24080882
	buffer_load_dword v28, v4, s[12:15], 0 offen               // 000000002C44: E0501000 80031C04
	v_add_u32_e32 v4, 64, v4                                   // 000000002C4C: 680808C0
	buffer_load_dword v29, v4, s[12:15], 0 offen               // 000000002C50: E0501000 80031D04
	v_add_u32_e32 v4, 64, v4                                   // 000000002C58: 680808C0
	buffer_load_dword v30, v4, s[12:15], 0 offen               // 000000002C5C: E0501000 80031E04
	v_add_u32_e32 v4, 64, v4                                   // 000000002C64: 680808C0
	buffer_load_dword v31, v4, s[12:15], 0 offen               // 000000002C68: E0501000 80031F04
	v_add_u32_e32 v4, 64, v4                                   // 000000002C70: 680808C0
	buffer_load_dword v32, v4, s[12:15], 0 offen               // 000000002C74: E0501000 80032004
	v_add_u32_e32 v4, 64, v4                                   // 000000002C7C: 680808C0
	buffer_load_dword v33, v4, s[12:15], 0 offen               // 000000002C80: E0501000 80032104
	v_add_u32_e32 v4, 64, v4                                   // 000000002C88: 680808C0
	s_mul_i32 s60, 4, s7                                       // 000000002C8C: 923C0784
	v_lshlrev_b32_e32 v4, 4, v0                                // 000000002C90: 24080084
	v_add_u32_e32 v4, s60, v4                                  // 000000002C94: 6808083C
	buffer_load_dword v3, v4, s[12:15], 0 offen                // 000000002C98: E0501000 80030304
	v_mov_b32_e32 v68, 0                                       // 000000002CA0: 7E880280
	v_mov_b32_e32 v116, 0                                      // 000000002CA4: 7EE80280
	v_mov_b32_e32 v69, 0                                       // 000000002CA8: 7E8A0280
	v_mov_b32_e32 v117, 0                                      // 000000002CAC: 7EEA0280
	v_mov_b32_e32 v70, 0                                       // 000000002CB0: 7E8C0280
	v_mov_b32_e32 v118, 0                                      // 000000002CB4: 7EEC0280
	v_mov_b32_e32 v71, 0                                       // 000000002CB8: 7E8E0280
	v_mov_b32_e32 v119, 0                                      // 000000002CBC: 7EEE0280
	v_mov_b32_e32 v72, 0                                       // 000000002CC0: 7E900280
	v_mov_b32_e32 v120, 0                                      // 000000002CC4: 7EF00280
	v_mov_b32_e32 v73, 0                                       // 000000002CC8: 7E920280
	v_mov_b32_e32 v121, 0                                      // 000000002CCC: 7EF20280
	v_mov_b32_e32 v74, 0                                       // 000000002CD0: 7E940280
	v_mov_b32_e32 v122, 0                                      // 000000002CD4: 7EF40280
	v_mov_b32_e32 v75, 0                                       // 000000002CD8: 7E960280
	v_mov_b32_e32 v123, 0                                      // 000000002CDC: 7EF60280
	v_mov_b32_e32 v76, 0                                       // 000000002CE0: 7E980280
	v_mov_b32_e32 v124, 0                                      // 000000002CE4: 7EF80280
	v_mov_b32_e32 v77, 0                                       // 000000002CE8: 7E9A0280
	v_mov_b32_e32 v125, 0                                      // 000000002CEC: 7EFA0280
	v_mov_b32_e32 v78, 0                                       // 000000002CF0: 7E9C0280
	v_mov_b32_e32 v126, 0                                      // 000000002CF4: 7EFC0280
	v_mov_b32_e32 v79, 0                                       // 000000002CF8: 7E9E0280
	v_mov_b32_e32 v127, 0                                      // 000000002CFC: 7EFE0280
	v_mov_b32_e32 v80, 0                                       // 000000002D00: 7EA00280
	v_mov_b32_e32 v128, 0                                      // 000000002D04: 7F000280
	v_mov_b32_e32 v81, 0                                       // 000000002D08: 7EA20280
	v_mov_b32_e32 v129, 0                                      // 000000002D0C: 7F020280
	v_mov_b32_e32 v82, 0                                       // 000000002D10: 7EA40280
	v_mov_b32_e32 v130, 0                                      // 000000002D14: 7F040280
	v_mov_b32_e32 v83, 0                                       // 000000002D18: 7EA60280
	v_mov_b32_e32 v131, 0                                      // 000000002D1C: 7F060280
	v_mov_b32_e32 v84, 0                                       // 000000002D20: 7EA80280
	v_mov_b32_e32 v132, 0                                      // 000000002D24: 7F080280
	v_mov_b32_e32 v85, 0                                       // 000000002D28: 7EAA0280
	v_mov_b32_e32 v133, 0                                      // 000000002D2C: 7F0A0280
	v_mov_b32_e32 v86, 0                                       // 000000002D30: 7EAC0280
	v_mov_b32_e32 v134, 0                                      // 000000002D34: 7F0C0280
	v_mov_b32_e32 v87, 0                                       // 000000002D38: 7EAE0280
	v_mov_b32_e32 v135, 0                                      // 000000002D3C: 7F0E0280
	v_mov_b32_e32 v88, 0                                       // 000000002D40: 7EB00280
	v_mov_b32_e32 v136, 0                                      // 000000002D44: 7F100280
	v_mov_b32_e32 v89, 0                                       // 000000002D48: 7EB20280
	v_mov_b32_e32 v137, 0                                      // 000000002D4C: 7F120280
	v_mov_b32_e32 v90, 0                                       // 000000002D50: 7EB40280
	v_mov_b32_e32 v138, 0                                      // 000000002D54: 7F140280
	v_mov_b32_e32 v91, 0                                       // 000000002D58: 7EB60280
	v_mov_b32_e32 v139, 0                                      // 000000002D5C: 7F160280
	v_mov_b32_e32 v92, 0                                       // 000000002D60: 7EB80280
	v_mov_b32_e32 v140, 0                                      // 000000002D64: 7F180280
	v_mov_b32_e32 v93, 0                                       // 000000002D68: 7EBA0280
	v_mov_b32_e32 v141, 0                                      // 000000002D6C: 7F1A0280
	v_mov_b32_e32 v94, 0                                       // 000000002D70: 7EBC0280
	v_mov_b32_e32 v142, 0                                      // 000000002D74: 7F1C0280
	v_mov_b32_e32 v95, 0                                       // 000000002D78: 7EBE0280
	v_mov_b32_e32 v143, 0                                      // 000000002D7C: 7F1E0280
	v_mov_b32_e32 v96, 0                                       // 000000002D80: 7EC00280
	v_mov_b32_e32 v144, 0                                      // 000000002D84: 7F200280
	v_mov_b32_e32 v97, 0                                       // 000000002D88: 7EC20280
	v_mov_b32_e32 v145, 0                                      // 000000002D8C: 7F220280
	v_mov_b32_e32 v98, 0                                       // 000000002D90: 7EC40280
	v_mov_b32_e32 v146, 0                                      // 000000002D94: 7F240280
	v_mov_b32_e32 v99, 0                                       // 000000002D98: 7EC60280
	v_mov_b32_e32 v147, 0                                      // 000000002D9C: 7F260280
	v_mov_b32_e32 v100, 0                                      // 000000002DA0: 7EC80280
	v_mov_b32_e32 v148, 0                                      // 000000002DA4: 7F280280
	v_mov_b32_e32 v101, 0                                      // 000000002DA8: 7ECA0280
	v_mov_b32_e32 v149, 0                                      // 000000002DAC: 7F2A0280
	v_mov_b32_e32 v102, 0                                      // 000000002DB0: 7ECC0280
	v_mov_b32_e32 v150, 0                                      // 000000002DB4: 7F2C0280
	v_mov_b32_e32 v103, 0                                      // 000000002DB8: 7ECE0280
	v_mov_b32_e32 v151, 0                                      // 000000002DBC: 7F2E0280
	v_mov_b32_e32 v104, 0                                      // 000000002DC0: 7ED00280
	v_mov_b32_e32 v152, 0                                      // 000000002DC4: 7F300280
	v_mov_b32_e32 v105, 0                                      // 000000002DC8: 7ED20280
	v_mov_b32_e32 v153, 0                                      // 000000002DCC: 7F320280
	v_mov_b32_e32 v106, 0                                      // 000000002DD0: 7ED40280
	v_mov_b32_e32 v154, 0                                      // 000000002DD4: 7F340280
	v_mov_b32_e32 v107, 0                                      // 000000002DD8: 7ED60280
	v_mov_b32_e32 v155, 0                                      // 000000002DDC: 7F360280
	v_mov_b32_e32 v108, 0                                      // 000000002DE0: 7ED80280
	v_mov_b32_e32 v156, 0                                      // 000000002DE4: 7F380280
	v_mov_b32_e32 v109, 0                                      // 000000002DE8: 7EDA0280
	v_mov_b32_e32 v157, 0                                      // 000000002DEC: 7F3A0280
	v_mov_b32_e32 v110, 0                                      // 000000002DF0: 7EDC0280
	v_mov_b32_e32 v158, 0                                      // 000000002DF4: 7F3C0280
	v_mov_b32_e32 v111, 0                                      // 000000002DF8: 7EDE0280
	v_mov_b32_e32 v159, 0                                      // 000000002DFC: 7F3E0280
	v_mov_b32_e32 v112, 0                                      // 000000002E00: 7EE00280
	v_mov_b32_e32 v160, 0                                      // 000000002E04: 7F400280
	v_mov_b32_e32 v113, 0                                      // 000000002E08: 7EE20280
	v_mov_b32_e32 v161, 0                                      // 000000002E0C: 7F420280
	v_mov_b32_e32 v114, 0                                      // 000000002E10: 7EE40280
	v_mov_b32_e32 v162, 0                                      // 000000002E14: 7F440280
	v_mov_b32_e32 v115, 0                                      // 000000002E18: 7EE60280
	v_mov_b32_e32 v163, 0                                      // 000000002E1C: 7F460280
	s_mul_i32 s60, s2, 0x80                                    // 000000002E20: 923CFF02 00000080
	s_cmp_eq_u32 s88, 0                                        // 000000002E28: BF068058
	s_cselect_b32 s61, 1, 4                                    // 000000002E2C: 853D8481
	s_mul_i32 s60, s60, s61                                    // 000000002E30: 923C3D3C
	s_mov_b32 s90, s8                                          // 000000002E34: BEDA0008
	s_mov_b32 s91, s9                                          // 000000002E38: BEDB0009
	s_add_u32 s8, s60, s8                                      // 000000002E3C: 8008083C
	s_addc_u32 s9, 0, s9                                       // 000000002E40: 82090980
	v_lshrrev_b32_e32 v4, 4, v0                                // 000000002E44: 20080084
	v_mul_lo_u32 v20, 34, v4                                   // 000000002E48: D2850014 000208A2
	v_and_b32_e32 v4, 15, v0                                   // 000000002E50: 2608008F
	v_mul_lo_u32 v5, 2, v4                                     // 000000002E54: D2850005 00020882
	v_add_u32_e32 v20, v5, v20                                 // 000000002E5C: 68282905
	s_mul_i32 s60, s7, 0x88                                    // 000000002E60: 923CFF07 00000088
	v_add_u32_e32 v20, s60, v20                                // 000000002E68: 6828283C
	v_lshlrev_b32_e32 v20, 2, v20                              // 000000002E6C: 24282882
	v_and_b32_e32 v4, 31, v0                                   // 000000002E70: 2608009F
	v_lshrrev_b32_e32 v4, 1, v4                                // 000000002E74: 20080881
	v_mul_lo_u32 v21, 34, v4                                   // 000000002E78: D2850015 000208A2
	v_lshrrev_b32_e32 v4, 5, v0                                // 000000002E80: 20080085
	v_mul_lo_u32 v4, 8, v4                                     // 000000002E84: D2850004 00020888
	v_add_u32_e32 v21, v21, v4                                 // 000000002E8C: 682A0915
	v_and_b32_e32 v5, 1, v0                                    // 000000002E90: 260A0081
	v_add_u32_e32 v21, v5, v21                                 // 000000002E94: 682A2B05
	s_mul_i32 s60, s7, 2                                       // 000000002E98: 923C8207
	v_add_u32_e32 v21, s60, v21                                // 000000002E9C: 682A2A3C
	v_lshlrev_b32_e32 v21, 2, v21                              // 000000002EA0: 242A2A82
	s_mul_i32 s60, s7, 0xc20                                   // 000000002EA4: 923CFF07 00000C20
	s_add_u32 s48, 0, s60                                      // 000000002EAC: 80303C80
	s_add_u32 s49, 0x3080, s48                                 // 000000002EB0: 803130FF 00003080
	v_lshrrev_b32_e32 v4, 4, v0                                // 000000002EB8: 20080084
	v_lshlrev_b32_e32 v5, 2, v4                                // 000000002EBC: 240A0882
	v_and_b32_e32 v4, 15, v0                                   // 000000002EC0: 2608008F
	v_lshrrev_b32_e32 v6, 2, v4                                // 000000002EC4: 200C0882
	v_lshlrev_b32_e32 v6, 5, v6                                // 000000002EC8: 240C0C85
	v_add_u32_e32 v5, v6, v5                                   // 000000002ECC: 680A0B06
	v_and_b32_e32 v4, 3, v0                                    // 000000002ED0: 26080083
	v_mul_u32_u24_e32 v6, 0x308, v4                            // 000000002ED4: 100C08FF 00000308
	v_add_u32_e32 v5, v6, v5                                   // 000000002EDC: 680A0B06
	v_lshlrev_b32_e32 v2, 2, v5                                // 000000002EE0: 24040A82
	s_waitcnt lgkmcnt(0)                                       // 000000002EE4: BF8CC07F
	s_mul_i32 s60, s2, 0x80                                    // 000000002EE8: 923CFF02 00000080
	s_mul_i32 s60, s60, s69                                    // 000000002EF0: 923C453C
	s_mul_i32 s61, s5, s72                                     // 000000002EF4: 923D4805
	s_add_u32 s60, s61, s60                                    // 000000002EF8: 803C3C3D
	s_add_u32 s24, s60, s24                                    // 000000002EFC: 8018183C
	s_addc_u32 s25, 0, s25                                     // 000000002F00: 82191980
	s_lshr_b32 s60, s64, s88                                   // 000000002F04: 8F3C5840
	s_mul_i32 s60, s4, s60                                     // 000000002F08: 923C3C04
	s_lshr_b32 s60, s60, 7                                     // 000000002F0C: 8F3C873C
	s_mul_i32 s60, s60, 0x800                                  // 000000002F10: 923CFF3C 00000800
	s_add_u32 s24, s60, s24                                    // 000000002F18: 8018183C
	s_addc_u32 s25, 0, s25                                     // 000000002F1C: 82191980
	s_lshr_b32 s60, s69, s88                                   // 000000002F20: 8F3C5845
	s_mul_i32 s60, s4, s60                                     // 000000002F24: 923C3C04
	s_add_u32 s20, s60, s20                                    // 000000002F28: 8014143C
	s_addc_u32 s21, 0, s21                                     // 000000002F2C: 82151580
	s_mul_i32 s60, s7, 16                                      // 000000002F30: 923C9007
	s_mul_i32 s60, s60, s69                                    // 000000002F34: 923C453C
	v_lshlrev_b32_e32 v64, 4, v0                               // 000000002F38: 24800084
	v_add_u32_e32 v64, s60, v64                                // 000000002F3C: 6880803C
	s_mul_i32 s60, 64, s69                                     // 000000002F40: 923C45C0
	v_add_u32_e32 v65, s60, v64                                // 000000002F44: 6882803C
	s_mov_b32 s84, s24                                         // 000000002F48: BED40018
	s_mov_b32 s85, s25                                         // 000000002F4C: BED50019
	s_mov_b32 s86, s26                                         // 000000002F50: BED6001A
	s_mov_b32 s87, s27                                         // 000000002F54: BED7001B
	s_mul_i32 s60, s69, s65                                    // 000000002F58: 923C4145
	s_add_u32 s84, s60, s84                                    // 000000002F5C: 8054543C
	s_addc_u32 s85, 0, s85                                     // 000000002F60: 82555580
	s_lshr_b32 s60, s64, 7                                     // 000000002F64: 8F3C8740
	s_mul_i32 s61, s60, 4                                      // 000000002F68: 923D843C
	v_and_b32_e32 v22, 15, v0                                  // 000000002F6C: 262C008F
	v_mul_lo_u32 v22, v22, s61                                 // 000000002F70: D2850016 00007B16
	s_lshr_b32 s60, s65, 7                                     // 000000002F78: 8F3C8741
	s_mul_i32 s60, s60, s61                                    // 000000002F7C: 923C3D3C
	v_add_u32_e64 v23, v22, s60                                // 000000002F80: D1340017 00007916
	s_mul_i32 s60, s2, 1                                       // 000000002F88: 923C8102
	s_mul_i32 s60, s60, s61                                    // 000000002F8C: 923C3D3C
	s_mul_i32 s61, s5, s74                                     // 000000002F90: 923D4A05
	s_add_u32 s61, s61, s60                                    // 000000002F94: 803D3C3D
	s_add_u32 s32, s61, s32                                    // 000000002F98: 8020203D
	s_addc_u32 s33, 0, s33                                     // 000000002F9C: 82212180
	s_lshr_b32 s60, s64, 7                                     // 000000002FA0: 8F3C8740
	s_lshr_b32 s60, s60, s88                                   // 000000002FA4: 8F3C583C
	s_mul_i32 s60, s4, s60                                     // 000000002FA8: 923C3C04
	s_mul_i32 s61, s60, 4                                      // 000000002FAC: 923D843C
	s_add_u32 s32, s61, s32                                    // 000000002FB0: 8020203D
	s_addc_u32 s33, 0, s33                                     // 000000002FB4: 82212180
	s_lshl_b32 s62, s66, 2                                     // 000000002FB8: 8E3E8242
	s_mul_i32 s62, s60, s62                                    // 000000002FBC: 923E3E3C
	s_add_u32 s28, s62, s28                                    // 000000002FC0: 801C1C3E
	s_addc_u32 s29, 0, s29                                     // 000000002FC4: 821D1D80
	s_mov_b32 s4, 4                                            // 000000002FC8: BE840084
	s_mov_b32 s57, 0x80                                        // 000000002FCC: BEB900FF 00000080
	s_mov_b32 s58, 0x800                                       // 000000002FD4: BEBA00FF 00000800
	s_mov_b32 s83, s58                                         // 000000002FDC: BED3003A
	s_mov_b32 s52, 0x7060302                                   // 000000002FE0: BEB400FF 07060302
	s_mov_b32 s53, 0x400                                       // 000000002FE8: BEB500FF 00000400
	s_mov_b32 s54, 0x40100                                     // 000000002FF0: BEB600FF 00040100
	s_mov_b32 s55, 0x4020100                                   // 000000002FF8: BEB700FF 04020100
	s_mov_b32 s6, 0x3fb8aa3b                                   // 000000003000: BE8600FF 3FB8AA3B
	s_mov_b32 s78, 0xbd92220c                                  // 000000003008: BECE00FF BD92220C
	s_mov_b32 s79, 0xbd92220c                                  // 000000003010: BECF00FF BD92220C
	s_mov_b32 m0, s48                                          // 000000003018: BEFC0030
	v_mov_b32_e32 v1, 0xbfcc4231                               // 00000000301C: 7E0202FF BFCC4231
	v_mov_b32_e32 v17, 0xffff0000                              // 000000003024: 7E2202FF FFFF0000
	v_mov_b32_e32 v18, 0x7fff0000                              // 00000000302C: 7E2402FF 7FFF0000
	v_mov_b32_e32 v19, 0x7fff                                  // 000000003034: 7E2602FF 00007FFF
	s_waitcnt vmcnt(0) expcnt(0) lgkmcnt(0)                    // 00000000303C: BF8C0000
	v_lshrrev_b32_e32 v4, 5, v0                                // 000000003040: 20080085
	v_xor_b32_e32 v5, 1, v4                                    // 000000003044: 2A0A0881
	v_readlane_b32 s82, v3, 0                                  // 000000003048: D2890052 00010103
	s_and_b32 s82, s82, 0xffffff                               // 000000003050: 8652FF52 00FFFFFF
	v_mul_lo_u32 v6, v5, s82                                   // 000000003058: D2850006 0000A505
	v_readlane_b32 s82, v3, 1                                  // 000000003060: D2890052 00010303
	s_and_b32 s82, s82, 0xffffff                               // 000000003068: 8652FF52 00FFFFFF
	v_mul_lo_u32 v7, v4, s82                                   // 000000003070: D2850007 0000A504
	v_add_u32_e32 v52, v6, v7                                  // 000000003078: 68680F06
	v_mul_lo_u32 v52, v52, s68                                 // 00000000307C: D2850034 00008934
	v_readlane_b32 s82, v3, 2                                  // 000000003084: D2890052 00010503
	s_and_b32 s82, s82, 0xffffff                               // 00000000308C: 8652FF52 00FFFFFF
	v_mul_lo_u32 v6, v5, s82                                   // 000000003094: D2850006 0000A505
	v_readlane_b32 s82, v3, 3                                  // 00000000309C: D2890052 00010703
	s_and_b32 s82, s82, 0xffffff                               // 0000000030A4: 8652FF52 00FFFFFF
	v_mul_lo_u32 v7, v4, s82                                   // 0000000030AC: D2850007 0000A504
	v_add_u32_e32 v53, v6, v7                                  // 0000000030B4: 686A0F06
	v_mul_lo_u32 v53, v53, s68                                 // 0000000030B8: D2850035 00008935
	v_readlane_b32 s82, v3, 4                                  // 0000000030C0: D2890052 00010903
	s_and_b32 s82, s82, 0xffffff                               // 0000000030C8: 8652FF52 00FFFFFF
	v_mul_lo_u32 v6, v5, s82                                   // 0000000030D0: D2850006 0000A505
	v_readlane_b32 s82, v3, 5                                  // 0000000030D8: D2890052 00010B03
	s_and_b32 s82, s82, 0xffffff                               // 0000000030E0: 8652FF52 00FFFFFF
	v_mul_lo_u32 v7, v4, s82                                   // 0000000030E8: D2850007 0000A504
	v_add_u32_e32 v54, v6, v7                                  // 0000000030F0: 686C0F06
	v_mul_lo_u32 v54, v54, s68                                 // 0000000030F4: D2850036 00008936
	v_readlane_b32 s82, v3, 6                                  // 0000000030FC: D2890052 00010D03
	s_and_b32 s82, s82, 0xffffff                               // 000000003104: 8652FF52 00FFFFFF
	v_mul_lo_u32 v6, v5, s82                                   // 00000000310C: D2850006 0000A505
	v_readlane_b32 s82, v3, 7                                  // 000000003114: D2890052 00010F03
	s_and_b32 s82, s82, 0xffffff                               // 00000000311C: 8652FF52 00FFFFFF
	v_mul_lo_u32 v7, v4, s82                                   // 000000003124: D2850007 0000A504
	v_add_u32_e32 v55, v6, v7                                  // 00000000312C: 686E0F06
	v_mul_lo_u32 v55, v55, s68                                 // 000000003130: D2850037 00008937
	v_readlane_b32 s82, v3, 8                                  // 000000003138: D2890052 00011103
	s_and_b32 s82, s82, 0xffffff                               // 000000003140: 8652FF52 00FFFFFF
	v_mul_lo_u32 v6, v5, s82                                   // 000000003148: D2850006 0000A505
	v_readlane_b32 s82, v3, 9                                  // 000000003150: D2890052 00011303
	s_and_b32 s82, s82, 0xffffff                               // 000000003158: 8652FF52 00FFFFFF
	v_mul_lo_u32 v7, v4, s82                                   // 000000003160: D2850007 0000A504
	v_add_u32_e32 v56, v6, v7                                  // 000000003168: 68700F06
	v_mul_lo_u32 v56, v56, s68                                 // 00000000316C: D2850038 00008938
	v_readlane_b32 s82, v3, 10                                 // 000000003174: D2890052 00011503
	s_and_b32 s82, s82, 0xffffff                               // 00000000317C: 8652FF52 00FFFFFF
	v_mul_lo_u32 v6, v5, s82                                   // 000000003184: D2850006 0000A505
	v_readlane_b32 s82, v3, 11                                 // 00000000318C: D2890052 00011703
	s_and_b32 s82, s82, 0xffffff                               // 000000003194: 8652FF52 00FFFFFF
	v_mul_lo_u32 v7, v4, s82                                   // 00000000319C: D2850007 0000A504
	v_add_u32_e32 v57, v6, v7                                  // 0000000031A4: 68720F06
	v_mul_lo_u32 v57, v57, s68                                 // 0000000031A8: D2850039 00008939
	v_readlane_b32 s82, v3, 12                                 // 0000000031B0: D2890052 00011903
	s_and_b32 s82, s82, 0xffffff                               // 0000000031B8: 8652FF52 00FFFFFF
	v_mul_lo_u32 v6, v5, s82                                   // 0000000031C0: D2850006 0000A505
	v_readlane_b32 s82, v3, 13                                 // 0000000031C8: D2890052 00011B03
	s_and_b32 s82, s82, 0xffffff                               // 0000000031D0: 8652FF52 00FFFFFF
	v_mul_lo_u32 v7, v4, s82                                   // 0000000031D8: D2850007 0000A504
	v_add_u32_e32 v58, v6, v7                                  // 0000000031E0: 68740F06
	v_mul_lo_u32 v58, v58, s68                                 // 0000000031E4: D285003A 0000893A
	v_readlane_b32 s82, v3, 14                                 // 0000000031EC: D2890052 00011D03
	s_and_b32 s82, s82, 0xffffff                               // 0000000031F4: 8652FF52 00FFFFFF
	v_mul_lo_u32 v6, v5, s82                                   // 0000000031FC: D2850006 0000A505
	v_readlane_b32 s82, v3, 15                                 // 000000003204: D2890052 00011F03
	s_and_b32 s82, s82, 0xffffff                               // 00000000320C: 8652FF52 00FFFFFF
	v_mul_lo_u32 v7, v4, s82                                   // 000000003214: D2850007 0000A504
	v_add_u32_e32 v59, v6, v7                                  // 00000000321C: 68760F06
	v_mul_lo_u32 v59, v59, s68                                 // 000000003220: D285003B 0000893B
	v_readlane_b32 s82, v3, 16                                 // 000000003228: D2890052 00012103
	s_and_b32 s82, s82, 0xffffff                               // 000000003230: 8652FF52 00FFFFFF
	v_mul_lo_u32 v6, v5, s82                                   // 000000003238: D2850006 0000A505
	v_readlane_b32 s82, v3, 17                                 // 000000003240: D2890052 00012303
	s_and_b32 s82, s82, 0xffffff                               // 000000003248: 8652FF52 00FFFFFF
	v_mul_lo_u32 v7, v4, s82                                   // 000000003250: D2850007 0000A504
	v_add_u32_e32 v60, v6, v7                                  // 000000003258: 68780F06
	v_mul_lo_u32 v60, v60, s68                                 // 00000000325C: D285003C 0000893C
	v_readlane_b32 s82, v3, 18                                 // 000000003264: D2890052 00012503
	s_and_b32 s82, s82, 0xffffff                               // 00000000326C: 8652FF52 00FFFFFF
	v_mul_lo_u32 v6, v5, s82                                   // 000000003274: D2850006 0000A505
	v_readlane_b32 s82, v3, 19                                 // 00000000327C: D2890052 00012703
	s_and_b32 s82, s82, 0xffffff                               // 000000003284: 8652FF52 00FFFFFF
	v_mul_lo_u32 v7, v4, s82                                   // 00000000328C: D2850007 0000A504
	v_add_u32_e32 v61, v6, v7                                  // 000000003294: 687A0F06
	v_mul_lo_u32 v61, v61, s68                                 // 000000003298: D285003D 0000893D
	v_readlane_b32 s82, v3, 20                                 // 0000000032A0: D2890052 00012903
	s_and_b32 s82, s82, 0xffffff                               // 0000000032A8: 8652FF52 00FFFFFF
	v_mul_lo_u32 v6, v5, s82                                   // 0000000032B0: D2850006 0000A505
	v_readlane_b32 s82, v3, 21                                 // 0000000032B8: D2890052 00012B03
	s_and_b32 s82, s82, 0xffffff                               // 0000000032C0: 8652FF52 00FFFFFF
	v_mul_lo_u32 v7, v4, s82                                   // 0000000032C8: D2850007 0000A504
	v_add_u32_e32 v62, v6, v7                                  // 0000000032D0: 687C0F06
	v_mul_lo_u32 v62, v62, s68                                 // 0000000032D4: D285003E 0000893E
	v_readlane_b32 s82, v3, 22                                 // 0000000032DC: D2890052 00012D03
	s_and_b32 s82, s82, 0xffffff                               // 0000000032E4: 8652FF52 00FFFFFF
	v_mul_lo_u32 v6, v5, s82                                   // 0000000032EC: D2850006 0000A505
	v_readlane_b32 s82, v3, 23                                 // 0000000032F4: D2890052 00012F03
	s_and_b32 s82, s82, 0xffffff                               // 0000000032FC: 8652FF52 00FFFFFF
	v_mul_lo_u32 v7, v4, s82                                   // 000000003304: D2850007 0000A504
	v_add_u32_e32 v63, v6, v7                                  // 00000000330C: 687E0F06
	v_mul_lo_u32 v63, v63, s68                                 // 000000003310: D285003F 0000893F
	v_and_b32_e32 v4, 31, v0                                   // 000000003318: 2608009F
	v_lshlrev_b32_e32 v4, 2, v4                                // 00000000331C: 24080882
	v_add_u32_e32 v52, v52, v4                                 // 000000003320: 68680934
	v_add_u32_e32 v53, v53, v4                                 // 000000003324: 686A0935
	v_add_u32_e32 v54, v54, v4                                 // 000000003328: 686C0936
	v_add_u32_e32 v55, v55, v4                                 // 00000000332C: 686E0937
	v_add_u32_e32 v56, v56, v4                                 // 000000003330: 68700938
	v_add_u32_e32 v57, v57, v4                                 // 000000003334: 68720939
	v_add_u32_e32 v58, v58, v4                                 // 000000003338: 6874093A
	v_add_u32_e32 v59, v59, v4                                 // 00000000333C: 6876093B
	v_add_u32_e32 v60, v60, v4                                 // 000000003340: 6878093C
	v_add_u32_e32 v61, v61, v4                                 // 000000003344: 687A093D
	v_add_u32_e32 v62, v62, v4                                 // 000000003348: 687C093E
	v_add_u32_e32 v63, v63, v4                                 // 00000000334C: 687E093F
	v_and_b32_e32 v28, 0xffffff, v28                           // 000000003350: 263838FF 00FFFFFF
	v_lshlrev_b32_e32 v28, 2, v28                              // 000000003358: 24383882
	v_and_b32_e32 v29, 0xffffff, v29                           // 00000000335C: 263A3AFF 00FFFFFF
	v_lshlrev_b32_e32 v29, 2, v29                              // 000000003364: 243A3A82
	v_and_b32_e32 v30, 0xffffff, v30                           // 000000003368: 263C3CFF 00FFFFFF
	v_lshlrev_b32_e32 v30, 2, v30                              // 000000003370: 243C3C82
	v_and_b32_e32 v31, 0xffffff, v31                           // 000000003374: 263E3EFF 00FFFFFF
	v_lshlrev_b32_e32 v31, 2, v31                              // 00000000337C: 243E3E82
	v_and_b32_e32 v32, 0xffffff, v32                           // 000000003380: 264040FF 00FFFFFF
	v_lshlrev_b32_e32 v32, 2, v32                              // 000000003388: 24404082
	v_and_b32_e32 v33, 0xffffff, v33                           // 00000000338C: 264242FF 00FFFFFF
	v_lshlrev_b32_e32 v33, 2, v33                              // 000000003394: 24424282
	s_lshl_b32 s3, s66, 2                                      // 000000003398: 8E038242
	buffer_load_dword v52, s[20:23], 0 offen lds               // 00000000339C: E0511000 80050034
	s_add_u32 m0, 0x100, s48                                   // 0000000033A4: 807C30FF 00000100
	buffer_load_dword v53, s[20:23], 0 offen lds               // 0000000033AC: E0511000 80050035
	s_add_u32 m0, 0x200, s48                                   // 0000000033B4: 807C30FF 00000200
	buffer_load_dword v54, s[20:23], 0 offen lds               // 0000000033BC: E0511000 80050036
	s_add_u32 m0, 0x300, s48                                   // 0000000033C4: 807C30FF 00000300
	buffer_load_dword v55, s[20:23], 0 offen lds               // 0000000033CC: E0511000 80050037
	s_add_u32 m0, 0x400, s48                                   // 0000000033D4: 807C30FF 00000400
	buffer_load_dword v56, s[20:23], 0 offen lds               // 0000000033DC: E0511000 80050038
	s_add_u32 m0, 0x500, s48                                   // 0000000033E4: 807C30FF 00000500
	buffer_load_dword v57, s[20:23], 0 offen lds               // 0000000033EC: E0511000 80050039
	s_add_u32 m0, 0x600, s48                                   // 0000000033F4: 807C30FF 00000600
	buffer_load_dword v58, s[20:23], 0 offen lds               // 0000000033FC: E0511000 8005003A
	s_add_u32 m0, 0x700, s48                                   // 000000003404: 807C30FF 00000700
	buffer_load_dword v59, s[20:23], 0 offen lds               // 00000000340C: E0511000 8005003B
	s_add_u32 m0, 0x800, s48                                   // 000000003414: 807C30FF 00000800
	buffer_load_dword v60, s[20:23], 0 offen lds               // 00000000341C: E0511000 8005003C
	s_add_u32 m0, 0x900, s48                                   // 000000003424: 807C30FF 00000900
	buffer_load_dword v61, s[20:23], 0 offen lds               // 00000000342C: E0511000 8005003D
	s_add_u32 m0, 0xa00, s48                                   // 000000003434: 807C30FF 00000A00
	buffer_load_dword v62, s[20:23], 0 offen lds               // 00000000343C: E0511000 8005003E
	s_add_u32 m0, 0xb00, s48                                   // 000000003444: 807C30FF 00000B00
	buffer_load_dword v63, s[20:23], 0 offen lds               // 00000000344C: E0511000 8005003F
	s_add_u32 m0, 0, s49                                       // 000000003454: 807C3180
	s_add_u32 s20, s57, s20                                    // 000000003458: 80141439
	s_addc_u32 s21, 0, s21                                     // 00000000345C: 82151580
	buffer_load_dword v34, v28, s[28:31], 0 offen              // 000000003460: E0501000 8007221C
	buffer_load_dword v35, v29, s[28:31], 0 offen              // 000000003468: E0501000 8007231D
	buffer_load_dword v36, v30, s[28:31], 0 offen              // 000000003470: E0501000 8007241E
	buffer_load_dword v37, v31, s[28:31], 0 offen              // 000000003478: E0501000 8007251F
	buffer_load_dword v38, v32, s[28:31], 0 offen              // 000000003480: E0501000 80072620
	buffer_load_dword v39, v33, s[28:31], 0 offen              // 000000003488: E0501000 80072721
	s_add_u32 s28, s3, s28                                     // 000000003490: 801C1C03
	s_addc_u32 s29, 0, s29                                     // 000000003494: 821D1D80
	buffer_load_dword v52, s[20:23], 0 offen lds               // 000000003498: E0511000 80050034
	s_add_u32 m0, 0x100, s49                                   // 0000000034A0: 807C31FF 00000100
	buffer_load_dword v53, s[20:23], 0 offen lds               // 0000000034A8: E0511000 80050035
	s_add_u32 m0, 0x200, s49                                   // 0000000034B0: 807C31FF 00000200
	buffer_load_dword v54, s[20:23], 0 offen lds               // 0000000034B8: E0511000 80050036
	s_add_u32 m0, 0x300, s49                                   // 0000000034C0: 807C31FF 00000300
	buffer_load_dword v55, s[20:23], 0 offen lds               // 0000000034C8: E0511000 80050037
	s_add_u32 m0, 0x400, s49                                   // 0000000034D0: 807C31FF 00000400
	buffer_load_dword v56, s[20:23], 0 offen lds               // 0000000034D8: E0511000 80050038
	s_add_u32 m0, 0x500, s49                                   // 0000000034E0: 807C31FF 00000500
	buffer_load_dword v57, s[20:23], 0 offen lds               // 0000000034E8: E0511000 80050039
	s_add_u32 m0, 0x600, s49                                   // 0000000034F0: 807C31FF 00000600
	buffer_load_dword v58, s[20:23], 0 offen lds               // 0000000034F8: E0511000 8005003A
	s_add_u32 m0, 0x700, s49                                   // 000000003500: 807C31FF 00000700
	buffer_load_dword v59, s[20:23], 0 offen lds               // 000000003508: E0511000 8005003B
	s_add_u32 m0, 0x800, s49                                   // 000000003510: 807C31FF 00000800
	buffer_load_dword v60, s[20:23], 0 offen lds               // 000000003518: E0511000 8005003C
	s_add_u32 m0, 0x900, s49                                   // 000000003520: 807C31FF 00000900
	buffer_load_dword v61, s[20:23], 0 offen lds               // 000000003528: E0511000 8005003D
	s_add_u32 m0, 0xa00, s49                                   // 000000003530: 807C31FF 00000A00
	buffer_load_dword v62, s[20:23], 0 offen lds               // 000000003538: E0511000 8005003E
	s_add_u32 m0, 0xb00, s49                                   // 000000003540: 807C31FF 00000B00
	buffer_load_dword v63, s[20:23], 0 offen lds               // 000000003548: E0511000 8005003F
	s_add_u32 m0, 0, s48                                       // 000000003550: 807C3080
	s_add_u32 s20, s57, s20                                    // 000000003554: 80141439
	s_addc_u32 s21, 0, s21                                     // 000000003558: 82151580
	buffer_load_dword v40, v28, s[28:31], 0 offen              // 00000000355C: E0501000 8007281C
	buffer_load_dword v41, v29, s[28:31], 0 offen              // 000000003564: E0501000 8007291D
	buffer_load_dword v42, v30, s[28:31], 0 offen              // 00000000356C: E0501000 80072A1E
	buffer_load_dword v43, v31, s[28:31], 0 offen              // 000000003574: E0501000 80072B1F
	buffer_load_dword v44, v32, s[28:31], 0 offen              // 00000000357C: E0501000 80072C20
	buffer_load_dword v45, v33, s[28:31], 0 offen              // 000000003584: E0501000 80072D21
	s_add_u32 s28, s3, s28                                     // 00000000358C: 801C1C03
	s_addc_u32 s29, 0, s29                                     // 000000003590: 821D1D80
	buffer_load_dword v24, v22, s[32:35], 0 offen              // 000000003594: E0501000 80081816
	buffer_load_dwordx4 a[96:99], v64, s[24:27], 0 offen       // 00000000359C: E05C1000 80866040
	buffer_load_dwordx4 a[100:103], v64, s[24:27], 0 offen offset:1024// 0000000035A4: E05C1400 80866440
	buffer_load_dwordx4 a[104:107], v65, s[24:27], 0 offen     // 0000000035AC: E05C1000 80866841
	buffer_load_dwordx4 a[108:111], v65, s[24:27], 0 offen offset:1024// 0000000035B4: E05C1400 80866C41
	s_add_u32 s24, s58, s24                                    // 0000000035BC: 8018183A
	s_addc_u32 s25, 0, s25                                     // 0000000035C0: 82191980
	s_waitcnt vmcnt(29)                                        // 0000000035C4: BF8C4F7D
	s_barrier                                                  // 0000000035C8: BF8A0000
	ds_read_b128 a[0:3], v2                                    // 0000000035CC: DBFE0000 00000002
	ds_read_b128 a[4:7], v2 offset:64                          // 0000000035D4: DBFE0040 04000002
	ds_read_b128 a[8:11], v2 offset:512                        // 0000000035DC: DBFE0200 08000002
	ds_read_b128 a[12:15], v2 offset:576                       // 0000000035E4: DBFE0240 0C000002
	ds_read_b128 a[16:19], v2 offset:1024                      // 0000000035EC: DBFE0400 10000002
	ds_read_b128 a[20:23], v2 offset:1088                      // 0000000035F4: DBFE0440 14000002
	ds_read_b128 a[24:27], v2 offset:1536                      // 0000000035FC: DBFE0600 18000002
	ds_read_b128 a[28:31], v2 offset:1600                      // 000000003604: DBFE0640 1C000002
	ds_read_b128 a[32:35], v2 offset:2048                      // 00000000360C: DBFE0800 20000002
	ds_read_b128 a[36:39], v2 offset:2112                      // 000000003614: DBFE0840 24000002
	ds_read_b128 a[40:43], v2 offset:2560                      // 00000000361C: DBFE0A00 28000002
	ds_read_b128 a[44:47], v2 offset:2624                      // 000000003624: DBFE0A40 2C000002
	s_cmp_lt_i32 s7, 2                                         // 00000000362C: BF048207
	s_cbranch_scc0 label_159E                                  // 000000003630: BF84128E

0000000000003634 <label_030D>:
	s_waitcnt vmcnt(2) lgkmcnt(0)                              // 000000003634: BF8C0072
	s_barrier                                                  // 000000003638: BF8A0000
	v_mov_b32_e32 v46, v34                                     // 00000000363C: 7E5C0322
	v_mov_b32_e32 v47, v35                                     // 000000003640: 7E5E0323
	v_mov_b32_e32 v48, v36                                     // 000000003644: 7E600324
	v_mov_b32_e32 v49, v37                                     // 000000003648: 7E620325
	v_mov_b32_e32 v50, v38                                     // 00000000364C: 7E640326
	v_mov_b32_e32 v51, v39                                     // 000000003650: 7E660327
	v_mul_f32_dpp v4, v24, v46 row_newbcast:0 row_mask:0xf bank_mask:0xf// 000000003654: 0A085CFA FF015018
	v_mfma_f32_16x16x32_fp8_fp8 v[8:11], a[96:97], a[0:1], 0   // 00000000365C: D3F30008 1A020160
	buffer_load_dword v27, v23, s[32:35], 0 offen              // 000000003664: E0501000 80081B17
	v_mfma_f32_16x16x32_fp8_fp8 v[8:11], a[98:99], a[2:3], v[8:11]// 00000000366C: D3F30008 1C220562
	buffer_load_dwordx4 a[112:115], v64, s[84:87], 0 offen     // 000000003674: E05C1000 80957040
	v_mfma_f32_16x16x32_fp8_fp8 v[8:11], a[100:101], a[4:5], v[8:11]// 00000000367C: D3F30008 1C220964
	v_mfma_f32_16x16x32_fp8_fp8 v[8:11], a[102:103], a[6:7], v[8:11]// 000000003684: D3F30008 1C220D66
	v_mul_f32_dpp v6, v24, v47 row_newbcast:0 row_mask:0xf bank_mask:0xf// 00000000368C: 0A0C5EFA FF015018
	v_mfma_f32_16x16x32_fp8_fp8 v[12:15], a[96:97], a[8:9], 0  // 000000003694: D3F3000C 1A021160
	v_mfma_f32_16x16x32_fp8_fp8 v[12:15], a[98:99], a[10:11], v[12:15]// 00000000369C: D3F3000C 1C321562
	buffer_load_dwordx4 a[116:119], v64, s[84:87], 0 offen offset:1024// 0000000036A4: E05C1400 80957440
	v_mfma_f32_16x16x32_fp8_fp8 v[12:15], a[100:101], a[12:13], v[12:15]// 0000000036AC: D3F3000C 1C321964
	v_mfma_f32_16x16x32_fp8_fp8 v[12:15], a[102:103], a[14:15], v[12:15]// 0000000036B4: D3F3000C 1C321D66
	v_fma_f32 v68, v8, v4, v68                                 // 0000000036BC: D1CB0044 05120908
	v_fma_f32 v69, v9, v4, v69                                 // 0000000036C4: D1CB0045 05160909
	v_fma_f32 v70, v10, v4, v70                                // 0000000036CC: D1CB0046 051A090A
	v_fma_f32 v71, v11, v4, v71                                // 0000000036D4: D1CB0047 051E090B
	v_mul_f32_dpp v4, v24, v48 row_newbcast:0 row_mask:0xf bank_mask:0xf// 0000000036DC: 0A0860FA FF015018
	v_mfma_f32_16x16x32_fp8_fp8 v[8:11], a[96:97], a[16:17], 0 // 0000000036E4: D3F30008 1A022160
	v_mfma_f32_16x16x32_fp8_fp8 v[8:11], a[98:99], a[18:19], v[8:11]// 0000000036EC: D3F30008 1C222562
	buffer_load_dwordx4 a[120:123], v65, s[84:87], 0 offen     // 0000000036F4: E05C1000 80957841
	v_mfma_f32_16x16x32_fp8_fp8 v[8:11], a[100:101], a[20:21], v[8:11]// 0000000036FC: D3F30008 1C222964
	v_mfma_f32_16x16x32_fp8_fp8 v[8:11], a[102:103], a[22:23], v[8:11]// 000000003704: D3F30008 1C222D66
	v_fma_f32 v72, v12, v6, v72                                // 00000000370C: D1CB0048 05220D0C
	v_fma_f32 v73, v13, v6, v73                                // 000000003714: D1CB0049 05260D0D
	v_fma_f32 v74, v14, v6, v74                                // 00000000371C: D1CB004A 052A0D0E
	v_fma_f32 v75, v15, v6, v75                                // 000000003724: D1CB004B 052E0D0F
	v_mul_f32_dpp v6, v24, v49 row_newbcast:0 row_mask:0xf bank_mask:0xf// 00000000372C: 0A0C62FA FF015018
	v_mfma_f32_16x16x32_fp8_fp8 v[12:15], a[96:97], a[24:25], 0// 000000003734: D3F3000C 1A023160
	v_mfma_f32_16x16x32_fp8_fp8 v[12:15], a[98:99], a[26:27], v[12:15]// 00000000373C: D3F3000C 1C323562
	buffer_load_dwordx4 a[124:127], v65, s[84:87], 0 offen offset:1024// 000000003744: E05C1400 80957C41
	buffer_load_dword v52, s[20:23], 0 offen lds               // 00000000374C: E0511000 80050034
	s_add_u32 m0, 0x100, s48                                   // 000000003754: 807C30FF 00000100
	v_mfma_f32_16x16x32_fp8_fp8 v[12:15], a[100:101], a[28:29], v[12:15]// 00000000375C: D3F3000C 1C323964
	v_mfma_f32_16x16x32_fp8_fp8 v[12:15], a[102:103], a[30:31], v[12:15]// 000000003764: D3F3000C 1C323D66
	buffer_load_dword v53, s[20:23], 0 offen lds               // 00000000376C: E0511000 80050035
	s_add_u32 m0, 0x200, s48                                   // 000000003774: 807C30FF 00000200
	v_fma_f32 v76, v8, v4, v76                                 // 00000000377C: D1CB004C 05320908
	v_fma_f32 v77, v9, v4, v77                                 // 000000003784: D1CB004D 05360909
	v_fma_f32 v78, v10, v4, v78                                // 00000000378C: D1CB004E 053A090A
	v_fma_f32 v79, v11, v4, v79                                // 000000003794: D1CB004F 053E090B
	v_mul_f32_dpp v4, v24, v50 row_newbcast:0 row_mask:0xf bank_mask:0xf// 00000000379C: 0A0864FA FF015018
	v_mfma_f32_16x16x32_fp8_fp8 v[8:11], a[96:97], a[32:33], 0 // 0000000037A4: D3F30008 1A024160
	v_mfma_f32_16x16x32_fp8_fp8 v[8:11], a[98:99], a[34:35], v[8:11]// 0000000037AC: D3F30008 1C224562
	buffer_load_dword v54, s[20:23], 0 offen lds               // 0000000037B4: E0511000 80050036
	s_add_u32 m0, 0x300, s48                                   // 0000000037BC: 807C30FF 00000300
	v_mfma_f32_16x16x32_fp8_fp8 v[8:11], a[100:101], a[36:37], v[8:11]// 0000000037C4: D3F30008 1C224964
	v_mfma_f32_16x16x32_fp8_fp8 v[8:11], a[102:103], a[38:39], v[8:11]// 0000000037CC: D3F30008 1C224D66
	buffer_load_dword v55, s[20:23], 0 offen lds               // 0000000037D4: E0511000 80050037
	s_add_u32 m0, 0x400, s48                                   // 0000000037DC: 807C30FF 00000400
	v_fma_f32 v80, v12, v6, v80                                // 0000000037E4: D1CB0050 05420D0C
	v_fma_f32 v81, v13, v6, v81                                // 0000000037EC: D1CB0051 05460D0D
	v_fma_f32 v82, v14, v6, v82                                // 0000000037F4: D1CB0052 054A0D0E
	v_fma_f32 v83, v15, v6, v83                                // 0000000037FC: D1CB0053 054E0D0F
	v_mul_f32_dpp v6, v24, v51 row_newbcast:0 row_mask:0xf bank_mask:0xf// 000000003804: 0A0C66FA FF015018
	v_mfma_f32_16x16x32_fp8_fp8 v[12:15], a[96:97], a[40:41], 0// 00000000380C: D3F3000C 1A025160
	v_mfma_f32_16x16x32_fp8_fp8 v[12:15], a[98:99], a[42:43], v[12:15]// 000000003814: D3F3000C 1C325562
	buffer_load_dword v56, s[20:23], 0 offen lds               // 00000000381C: E0511000 80050038
	s_add_u32 m0, 0x500, s48                                   // 000000003824: 807C30FF 00000500
	v_mfma_f32_16x16x32_fp8_fp8 v[12:15], a[100:101], a[44:45], v[12:15]// 00000000382C: D3F3000C 1C325964
	v_mfma_f32_16x16x32_fp8_fp8 v[12:15], a[102:103], a[46:47], v[12:15]// 000000003834: D3F3000C 1C325D66
	buffer_load_dword v57, s[20:23], 0 offen lds               // 00000000383C: E0511000 80050039
	s_add_u32 m0, 0x600, s48                                   // 000000003844: 807C30FF 00000600
	v_fma_f32 v84, v8, v4, v84                                 // 00000000384C: D1CB0054 05520908
	v_fma_f32 v85, v9, v4, v85                                 // 000000003854: D1CB0055 05560909
	v_fma_f32 v86, v10, v4, v86                                // 00000000385C: D1CB0056 055A090A
	v_fma_f32 v87, v11, v4, v87                                // 000000003864: D1CB0057 055E090B
	s_waitcnt vmcnt(11)                                        // 00000000386C: BF8C0F7B
	v_mul_f32_dpp v4, v24, v46 row_newbcast:0 row_mask:0xf bank_mask:0xf// 000000003870: 0A085CFA FF015018
	v_mfma_f32_16x16x32_fp8_fp8 v[8:11], a[104:105], a[0:1], 0 // 000000003878: D3F30008 1A020168
	v_mfma_f32_16x16x32_fp8_fp8 v[8:11], a[106:107], a[2:3], v[8:11]// 000000003880: D3F30008 1C22056A
	buffer_load_dword v58, s[20:23], 0 offen lds               // 000000003888: E0511000 8005003A
	s_add_u32 m0, 0x700, s48                                   // 000000003890: 807C30FF 00000700
	v_mfma_f32_16x16x32_fp8_fp8 v[8:11], a[108:109], a[4:5], v[8:11]// 000000003898: D3F30008 1C22096C
	v_mfma_f32_16x16x32_fp8_fp8 v[8:11], a[110:111], a[6:7], v[8:11]// 0000000038A0: D3F30008 1C220D6E
	buffer_load_dword v59, s[20:23], 0 offen lds               // 0000000038A8: E0511000 8005003B
	s_add_u32 m0, 0x800, s48                                   // 0000000038B0: 807C30FF 00000800
	v_fma_f32 v88, v12, v6, v88                                // 0000000038B8: D1CB0058 05620D0C
	v_fma_f32 v89, v13, v6, v89                                // 0000000038C0: D1CB0059 05660D0D
	v_fma_f32 v90, v14, v6, v90                                // 0000000038C8: D1CB005A 056A0D0E
	v_fma_f32 v91, v15, v6, v91                                // 0000000038D0: D1CB005B 056E0D0F
	v_mul_f32_dpp v6, v24, v47 row_newbcast:0 row_mask:0xf bank_mask:0xf// 0000000038D8: 0A0C5EFA FF015018
	v_mfma_f32_16x16x32_fp8_fp8 v[12:15], a[104:105], a[8:9], 0// 0000000038E0: D3F3000C 1A021168
	v_mfma_f32_16x16x32_fp8_fp8 v[12:15], a[106:107], a[10:11], v[12:15]// 0000000038E8: D3F3000C 1C32156A
	buffer_load_dword v60, s[20:23], 0 offen lds               // 0000000038F0: E0511000 8005003C
	s_add_u32 m0, 0x900, s48                                   // 0000000038F8: 807C30FF 00000900
	v_mfma_f32_16x16x32_fp8_fp8 v[12:15], a[108:109], a[12:13], v[12:15]// 000000003900: D3F3000C 1C32196C
	v_mfma_f32_16x16x32_fp8_fp8 v[12:15], a[110:111], a[14:15], v[12:15]// 000000003908: D3F3000C 1C321D6E
	buffer_load_dword v61, s[20:23], 0 offen lds               // 000000003910: E0511000 8005003D
	s_add_u32 m0, 0xa00, s48                                   // 000000003918: 807C30FF 00000A00
	v_fma_f32 v92, v8, v4, v92                                 // 000000003920: D1CB005C 05720908
	v_fma_f32 v93, v9, v4, v93                                 // 000000003928: D1CB005D 05760909
	v_fma_f32 v94, v10, v4, v94                                // 000000003930: D1CB005E 057A090A
	v_fma_f32 v95, v11, v4, v95                                // 000000003938: D1CB005F 057E090B
	v_mul_f32_dpp v4, v24, v48 row_newbcast:0 row_mask:0xf bank_mask:0xf// 000000003940: 0A0860FA FF015018
	v_mfma_f32_16x16x32_fp8_fp8 v[8:11], a[104:105], a[16:17], 0// 000000003948: D3F30008 1A022168
	v_mfma_f32_16x16x32_fp8_fp8 v[8:11], a[106:107], a[18:19], v[8:11]// 000000003950: D3F30008 1C22256A
	buffer_load_dword v62, s[20:23], 0 offen lds               // 000000003958: E0511000 8005003E
	s_add_u32 m0, 0xb00, s48                                   // 000000003960: 807C30FF 00000B00
	v_mfma_f32_16x16x32_fp8_fp8 v[8:11], a[108:109], a[20:21], v[8:11]// 000000003968: D3F30008 1C22296C
	v_mfma_f32_16x16x32_fp8_fp8 v[8:11], a[110:111], a[22:23], v[8:11]// 000000003970: D3F30008 1C222D6E
	buffer_load_dword v63, s[20:23], 0 offen lds               // 000000003978: E0511000 8005003F
	s_add_u32 m0, 0, s49                                       // 000000003980: 807C3180
	v_fma_f32 v96, v12, v6, v96                                // 000000003984: D1CB0060 05820D0C
	v_fma_f32 v97, v13, v6, v97                                // 00000000398C: D1CB0061 05860D0D
	v_fma_f32 v98, v14, v6, v98                                // 000000003994: D1CB0062 058A0D0E
	v_fma_f32 v99, v15, v6, v99                                // 00000000399C: D1CB0063 058E0D0F
	v_mul_f32_dpp v6, v24, v49 row_newbcast:0 row_mask:0xf bank_mask:0xf// 0000000039A4: 0A0C62FA FF015018
	v_mfma_f32_16x16x32_fp8_fp8 v[12:15], a[104:105], a[24:25], 0// 0000000039AC: D3F3000C 1A023168
	v_mfma_f32_16x16x32_fp8_fp8 v[12:15], a[106:107], a[26:27], v[12:15]// 0000000039B4: D3F3000C 1C32356A
	buffer_load_dword v34, v28, s[28:31], 0 offen              // 0000000039BC: E0501000 8007221C
	v_mfma_f32_16x16x32_fp8_fp8 v[12:15], a[108:109], a[28:29], v[12:15]// 0000000039C4: D3F3000C 1C32396C
	v_mfma_f32_16x16x32_fp8_fp8 v[12:15], a[110:111], a[30:31], v[12:15]// 0000000039CC: D3F3000C 1C323D6E
	buffer_load_dword v35, v29, s[28:31], 0 offen              // 0000000039D4: E0501000 8007231D
	v_fma_f32 v100, v8, v4, v100                               // 0000000039DC: D1CB0064 05920908
	v_fma_f32 v101, v9, v4, v101                               // 0000000039E4: D1CB0065 05960909
	v_fma_f32 v102, v10, v4, v102                              // 0000000039EC: D1CB0066 059A090A
	v_fma_f32 v103, v11, v4, v103                              // 0000000039F4: D1CB0067 059E090B
	v_mul_f32_dpp v4, v24, v50 row_newbcast:0 row_mask:0xf bank_mask:0xf// 0000000039FC: 0A0864FA FF015018
	v_mfma_f32_16x16x32_fp8_fp8 v[8:11], a[104:105], a[32:33], 0// 000000003A04: D3F30008 1A024168
	v_mfma_f32_16x16x32_fp8_fp8 v[8:11], a[106:107], a[34:35], v[8:11]// 000000003A0C: D3F30008 1C22456A
	buffer_load_dword v36, v30, s[28:31], 0 offen              // 000000003A14: E0501000 8007241E
	v_mfma_f32_16x16x32_fp8_fp8 v[8:11], a[108:109], a[36:37], v[8:11]// 000000003A1C: D3F30008 1C22496C
	v_mfma_f32_16x16x32_fp8_fp8 v[8:11], a[110:111], a[38:39], v[8:11]// 000000003A24: D3F30008 1C224D6E
	buffer_load_dword v37, v31, s[28:31], 0 offen              // 000000003A2C: E0501000 8007251F
	v_fma_f32 v104, v12, v6, v104                              // 000000003A34: D1CB0068 05A20D0C
	v_fma_f32 v105, v13, v6, v105                              // 000000003A3C: D1CB0069 05A60D0D
	v_fma_f32 v106, v14, v6, v106                              // 000000003A44: D1CB006A 05AA0D0E
	v_fma_f32 v107, v15, v6, v107                              // 000000003A4C: D1CB006B 05AE0D0F
	v_mul_f32_dpp v6, v24, v51 row_newbcast:0 row_mask:0xf bank_mask:0xf// 000000003A54: 0A0C66FA FF015018
	v_mfma_f32_16x16x32_fp8_fp8 v[12:15], a[104:105], a[40:41], 0// 000000003A5C: D3F3000C 1A025168
	v_mfma_f32_16x16x32_fp8_fp8 v[12:15], a[106:107], a[42:43], v[12:15]// 000000003A64: D3F3000C 1C32556A
	buffer_load_dword v38, v32, s[28:31], 0 offen              // 000000003A6C: E0501000 80072620
	s_add_u32 s60, 0x80, s80                                   // 000000003A74: 803C50FF 00000080
	s_cmp_lt_u32 s60, s81                                      // 000000003A7C: BF0A513C
	s_cselect_b32 s83, s83, 0                                  // 000000003A80: 85538053
	s_cselect_b32 s4, s4, 0                                    // 000000003A84: 85048004
	v_mfma_f32_16x16x32_fp8_fp8 v[12:15], a[108:109], a[44:45], v[12:15]// 000000003A88: D3F3000C 1C32596C
	s_add_u32 s32, s4, s32                                     // 000000003A90: 80202004
	s_addc_u32 s33, 0, s33                                     // 000000003A94: 82212180
	v_mfma_f32_16x16x32_fp8_fp8 v[12:15], a[110:111], a[46:47], v[12:15]// 000000003A98: D3F3000C 1C325D6E
	buffer_load_dword v39, v33, s[28:31], 0 offen              // 000000003AA0: E0501000 80072721
	v_fma_f32 v108, v8, v4, v108                               // 000000003AA8: D1CB006C 05B20908
	v_fma_f32 v109, v9, v4, v109                               // 000000003AB0: D1CB006D 05B60909
	v_fma_f32 v110, v10, v4, v110                              // 000000003AB8: D1CB006E 05BA090A
	v_fma_f32 v111, v11, v4, v111                              // 000000003AC0: D1CB006F 05BE090B
	v_fma_f32 v112, v12, v6, v112                              // 000000003AC8: D1CB0070 05C20D0C
	v_fma_f32 v113, v13, v6, v113                              // 000000003AD0: D1CB0071 05C60D0D
	v_fma_f32 v114, v14, v6, v114                              // 000000003AD8: D1CB0072 05CA0D0E
	v_fma_f32 v115, v15, v6, v115                              // 000000003AE0: D1CB0073 05CE0D0F
	s_waitcnt vmcnt(18)                                        // 000000003AE8: BF8C4F72
	v_mul_f32_dpp v4, v27, v46 row_newbcast:0 row_mask:0xf bank_mask:0xf// 000000003AEC: 0A085CFA FF01501B
	v_mfma_f32_16x16x32_fp8_fp8 v[8:11], a[112:113], a[0:1], 0 // 000000003AF4: D3F30008 1A020170
	buffer_load_dword v24, v22, s[32:35], 0 offen              // 000000003AFC: E0501000 80081816
	v_mfma_f32_16x16x32_fp8_fp8 v[8:11], a[114:115], a[2:3], v[8:11]// 000000003B04: D3F30008 1C220572
	buffer_load_dwordx4 a[96:99], v64, s[24:27], 0 offen       // 000000003B0C: E05C1000 80866040
	v_mfma_f32_16x16x32_fp8_fp8 v[8:11], a[116:117], a[4:5], v[8:11]// 000000003B14: D3F30008 1C220974
	v_mfma_f32_16x16x32_fp8_fp8 v[8:11], a[118:119], a[6:7], v[8:11]// 000000003B1C: D3F30008 1C220D76
	ds_read_b128 a[48:51], v2 offset:12416                     // 000000003B24: DBFE3080 30000002
	ds_read_b128 a[52:55], v2 offset:12480                     // 000000003B2C: DBFE30C0 34000002
	v_mfma_f32_16x16x32_fp8_fp8 v[12:15], a[120:121], a[0:1], 0// 000000003B34: D3F3000C 1A020178
	v_mfma_f32_16x16x32_fp8_fp8 v[12:15], a[122:123], a[2:3], v[12:15]// 000000003B3C: D3F3000C 1C32057A
	buffer_load_dwordx4 a[100:103], v64, s[24:27], 0 offen offset:1024// 000000003B44: E05C1400 80866440
	v_mfma_f32_16x16x32_fp8_fp8 v[12:15], a[124:125], a[4:5], v[12:15]// 000000003B4C: D3F3000C 1C32097C
	v_mfma_f32_16x16x32_fp8_fp8 v[12:15], a[126:127], a[6:7], v[12:15]// 000000003B54: D3F3000C 1C320D7E
	ds_read_b128 a[56:59], v2 offset:12928                     // 000000003B5C: DBFE3280 38000002
	ds_read_b128 a[60:63], v2 offset:12992                     // 000000003B64: DBFE32C0 3C000002
	v_fma_f32 v116, v8, v4, v116                               // 000000003B6C: D1CB0074 05D20908
	v_fma_f32 v117, v9, v4, v117                               // 000000003B74: D1CB0075 05D60909
	v_fma_f32 v118, v10, v4, v118                              // 000000003B7C: D1CB0076 05DA090A
	v_fma_f32 v119, v11, v4, v119                              // 000000003B84: D1CB0077 05DE090B
	v_mul_f32_dpp v6, v27, v47 row_newbcast:0 row_mask:0xf bank_mask:0xf// 000000003B8C: 0A0C5EFA FF01501B
	v_mfma_f32_16x16x32_fp8_fp8 v[8:11], a[112:113], a[8:9], 0 // 000000003B94: D3F30008 1A021170
	v_mfma_f32_16x16x32_fp8_fp8 v[8:11], a[114:115], a[10:11], v[8:11]// 000000003B9C: D3F30008 1C221572
	buffer_load_dwordx4 a[104:107], v65, s[24:27], 0 offen     // 000000003BA4: E05C1000 80866841
	v_mfma_f32_16x16x32_fp8_fp8 v[8:11], a[116:117], a[12:13], v[8:11]// 000000003BAC: D3F30008 1C221974
	v_mfma_f32_16x16x32_fp8_fp8 v[8:11], a[118:119], a[14:15], v[8:11]// 000000003BB4: D3F30008 1C221D76
	ds_read_b128 a[64:67], v2 offset:13440                     // 000000003BBC: DBFE3480 40000002
	ds_read_b128 a[68:71], v2 offset:13504                     // 000000003BC4: DBFE34C0 44000002
	v_fma_f32 v140, v12, v4, v140                              // 000000003BCC: D1CB008C 0632090C
	v_fma_f32 v141, v13, v4, v141                              // 000000003BD4: D1CB008D 0636090D
	v_fma_f32 v142, v14, v4, v142                              // 000000003BDC: D1CB008E 063A090E
	v_fma_f32 v143, v15, v4, v143                              // 000000003BE4: D1CB008F 063E090F
	v_mfma_f32_16x16x32_fp8_fp8 v[12:15], a[120:121], a[8:9], 0// 000000003BEC: D3F3000C 1A021178
	v_mfma_f32_16x16x32_fp8_fp8 v[12:15], a[122:123], a[10:11], v[12:15]// 000000003BF4: D3F3000C 1C32157A
	buffer_load_dwordx4 a[108:111], v65, s[24:27], 0 offen offset:1024// 000000003BFC: E05C1400 80866C41
	v_mfma_f32_16x16x32_fp8_fp8 v[12:15], a[124:125], a[12:13], v[12:15]// 000000003C04: D3F3000C 1C32197C
	v_mfma_f32_16x16x32_fp8_fp8 v[12:15], a[126:127], a[14:15], v[12:15]// 000000003C0C: D3F3000C 1C321D7E
	ds_read_b128 a[72:75], v2 offset:13952                     // 000000003C14: DBFE3680 48000002
	ds_read_b128 a[76:79], v2 offset:14016                     // 000000003C1C: DBFE36C0 4C000002
	v_fma_f32 v120, v8, v6, v120                               // 000000003C24: D1CB0078 05E20D08
	v_fma_f32 v121, v9, v6, v121                               // 000000003C2C: D1CB0079 05E60D09
	v_fma_f32 v122, v10, v6, v122                              // 000000003C34: D1CB007A 05EA0D0A
	v_fma_f32 v123, v11, v6, v123                              // 000000003C3C: D1CB007B 05EE0D0B
	v_mul_f32_dpp v4, v27, v48 row_newbcast:0 row_mask:0xf bank_mask:0xf// 000000003C44: 0A0860FA FF01501B
	v_mfma_f32_16x16x32_fp8_fp8 v[8:11], a[112:113], a[16:17], 0// 000000003C4C: D3F30008 1A022170
	v_mfma_f32_16x16x32_fp8_fp8 v[8:11], a[114:115], a[18:19], v[8:11]// 000000003C54: D3F30008 1C222572
	v_mfma_f32_16x16x32_fp8_fp8 v[8:11], a[116:117], a[20:21], v[8:11]// 000000003C5C: D3F30008 1C222974
	v_mfma_f32_16x16x32_fp8_fp8 v[8:11], a[118:119], a[22:23], v[8:11]// 000000003C64: D3F30008 1C222D76
	ds_read_b128 a[80:83], v2 offset:14464                     // 000000003C6C: DBFE3880 50000002
	ds_read_b128 a[84:87], v2 offset:14528                     // 000000003C74: DBFE38C0 54000002
	v_fma_f32 v144, v12, v6, v144                              // 000000003C7C: D1CB0090 06420D0C
	v_fma_f32 v145, v13, v6, v145                              // 000000003C84: D1CB0091 06460D0D
	v_fma_f32 v146, v14, v6, v146                              // 000000003C8C: D1CB0092 064A0D0E
	v_fma_f32 v147, v15, v6, v147                              // 000000003C94: D1CB0093 064E0D0F
	v_mfma_f32_16x16x32_fp8_fp8 v[12:15], a[120:121], a[16:17], 0// 000000003C9C: D3F3000C 1A022178
	v_mfma_f32_16x16x32_fp8_fp8 v[12:15], a[122:123], a[18:19], v[12:15]// 000000003CA4: D3F3000C 1C32257A
	v_mfma_f32_16x16x32_fp8_fp8 v[12:15], a[124:125], a[20:21], v[12:15]// 000000003CAC: D3F3000C 1C32297C
	v_mfma_f32_16x16x32_fp8_fp8 v[12:15], a[126:127], a[22:23], v[12:15]// 000000003CB4: D3F3000C 1C322D7E
	ds_read_b128 a[88:91], v2 offset:14976                     // 000000003CBC: DBFE3A80 58000002
	ds_read_b128 a[92:95], v2 offset:15040                     // 000000003CC4: DBFE3AC0 5C000002
	v_fma_f32 v124, v8, v4, v124                               // 000000003CCC: D1CB007C 05F20908
	v_fma_f32 v125, v9, v4, v125                               // 000000003CD4: D1CB007D 05F60909
	v_fma_f32 v126, v10, v4, v126                              // 000000003CDC: D1CB007E 05FA090A
	v_fma_f32 v127, v11, v4, v127                              // 000000003CE4: D1CB007F 05FE090B
	v_mul_f32_dpp v6, v27, v49 row_newbcast:0 row_mask:0xf bank_mask:0xf// 000000003CEC: 0A0C62FA FF01501B
	v_mfma_f32_16x16x32_fp8_fp8 v[8:11], a[112:113], a[24:25], 0// 000000003CF4: D3F30008 1A023170
	v_mfma_f32_16x16x32_fp8_fp8 v[8:11], a[114:115], a[26:27], v[8:11]// 000000003CFC: D3F30008 1C223572
	v_mfma_f32_16x16x32_fp8_fp8 v[8:11], a[116:117], a[28:29], v[8:11]// 000000003D04: D3F30008 1C223974
	v_mfma_f32_16x16x32_fp8_fp8 v[8:11], a[118:119], a[30:31], v[8:11]// 000000003D0C: D3F30008 1C223D76
	v_fma_f32 v148, v12, v4, v148                              // 000000003D14: D1CB0094 0652090C
	v_fma_f32 v149, v13, v4, v149                              // 000000003D1C: D1CB0095 0656090D
	v_fma_f32 v150, v14, v4, v150                              // 000000003D24: D1CB0096 065A090E
	v_fma_f32 v151, v15, v4, v151                              // 000000003D2C: D1CB0097 065E090F
	v_mfma_f32_16x16x32_fp8_fp8 v[12:15], a[120:121], a[24:25], 0// 000000003D34: D3F3000C 1A023178
	v_mfma_f32_16x16x32_fp8_fp8 v[12:15], a[122:123], a[26:27], v[12:15]// 000000003D3C: D3F3000C 1C32357A
	v_mfma_f32_16x16x32_fp8_fp8 v[12:15], a[124:125], a[28:29], v[12:15]// 000000003D44: D3F3000C 1C32397C
	v_mfma_f32_16x16x32_fp8_fp8 v[12:15], a[126:127], a[30:31], v[12:15]// 000000003D4C: D3F3000C 1C323D7E
	v_fma_f32 v128, v8, v6, v128                               // 000000003D54: D1CB0080 06020D08
	v_fma_f32 v129, v9, v6, v129                               // 000000003D5C: D1CB0081 06060D09
	v_fma_f32 v130, v10, v6, v130                              // 000000003D64: D1CB0082 060A0D0A
	v_fma_f32 v131, v11, v6, v131                              // 000000003D6C: D1CB0083 060E0D0B
	v_mul_f32_dpp v4, v27, v50 row_newbcast:0 row_mask:0xf bank_mask:0xf// 000000003D74: 0A0864FA FF01501B
	v_mfma_f32_16x16x32_fp8_fp8 v[8:11], a[112:113], a[32:33], 0// 000000003D7C: D3F30008 1A024170
	v_mfma_f32_16x16x32_fp8_fp8 v[8:11], a[114:115], a[34:35], v[8:11]// 000000003D84: D3F30008 1C224572
	v_mfma_f32_16x16x32_fp8_fp8 v[8:11], a[116:117], a[36:37], v[8:11]// 000000003D8C: D3F30008 1C224974
	v_mfma_f32_16x16x32_fp8_fp8 v[8:11], a[118:119], a[38:39], v[8:11]// 000000003D94: D3F30008 1C224D76
	v_fma_f32 v152, v12, v6, v152                              // 000000003D9C: D1CB0098 06620D0C
	v_fma_f32 v153, v13, v6, v153                              // 000000003DA4: D1CB0099 06660D0D
	v_fma_f32 v154, v14, v6, v154                              // 000000003DAC: D1CB009A 066A0D0E
	v_fma_f32 v155, v15, v6, v155                              // 000000003DB4: D1CB009B 066E0D0F
	v_mfma_f32_16x16x32_fp8_fp8 v[12:15], a[120:121], a[32:33], 0// 000000003DBC: D3F3000C 1A024178
	v_mfma_f32_16x16x32_fp8_fp8 v[12:15], a[122:123], a[34:35], v[12:15]// 000000003DC4: D3F3000C 1C32457A
	v_mfma_f32_16x16x32_fp8_fp8 v[12:15], a[124:125], a[36:37], v[12:15]// 000000003DCC: D3F3000C 1C32497C
	v_mfma_f32_16x16x32_fp8_fp8 v[12:15], a[126:127], a[38:39], v[12:15]// 000000003DD4: D3F3000C 1C324D7E
	v_fma_f32 v132, v8, v4, v132                               // 000000003DDC: D1CB0084 06120908
	v_fma_f32 v133, v9, v4, v133                               // 000000003DE4: D1CB0085 06160909
	v_fma_f32 v134, v10, v4, v134                              // 000000003DEC: D1CB0086 061A090A
	v_fma_f32 v135, v11, v4, v135                              // 000000003DF4: D1CB0087 061E090B
	v_mul_f32_dpp v6, v27, v51 row_newbcast:0 row_mask:0xf bank_mask:0xf// 000000003DFC: 0A0C66FA FF01501B
	v_mfma_f32_16x16x32_fp8_fp8 v[8:11], a[112:113], a[40:41], 0// 000000003E04: D3F30008 1A025170
	v_mfma_f32_16x16x32_fp8_fp8 v[8:11], a[114:115], a[42:43], v[8:11]// 000000003E0C: D3F30008 1C225572
	v_mfma_f32_16x16x32_fp8_fp8 v[8:11], a[116:117], a[44:45], v[8:11]// 000000003E14: D3F30008 1C225974
	s_add_u32 s60, 0x180, s80                                  // 000000003E1C: 803C50FF 00000180
	s_cmp_lt_u32 s60, s81                                      // 000000003E24: BF0A513C
	s_cselect_b32 s57, s57, 0                                  // 000000003E28: 85398039
	s_cselect_b32 s3, s3, 0                                    // 000000003E2C: 85038003
	v_mfma_f32_16x16x32_fp8_fp8 v[8:11], a[118:119], a[46:47], v[8:11]// 000000003E30: D3F30008 1C225D76
	s_add_u32 s60, 0x100, s80                                  // 000000003E38: 803C50FF 00000100
	s_cmp_lt_u32 s60, s81                                      // 000000003E40: BF0A513C
	s_cselect_b32 s58, s58, 0                                  // 000000003E44: 853A803A
	v_fma_f32 v156, v12, v4, v156                              // 000000003E48: D1CB009C 0672090C
	v_fma_f32 v157, v13, v4, v157                              // 000000003E50: D1CB009D 0676090D
	v_fma_f32 v158, v14, v4, v158                              // 000000003E58: D1CB009E 067A090E
	v_fma_f32 v159, v15, v4, v159                              // 000000003E60: D1CB009F 067E090F
	v_mfma_f32_16x16x32_fp8_fp8 v[12:15], a[120:121], a[40:41], 0// 000000003E68: D3F3000C 1A025178
	s_add_u32 s24, s58, s24                                    // 000000003E70: 8018183A
	s_addc_u32 s25, 0, s25                                     // 000000003E74: 82191980
	v_mfma_f32_16x16x32_fp8_fp8 v[12:15], a[122:123], a[42:43], v[12:15]// 000000003E78: D3F3000C 1C32557A
	s_add_u32 s20, s57, s20                                    // 000000003E80: 80141439
	s_addc_u32 s21, 0, s21                                     // 000000003E84: 82151580
	s_add_u32 s28, s3, s28                                     // 000000003E88: 801C1C03
	s_addc_u32 s29, 0, s29                                     // 000000003E8C: 821D1D80
	v_mfma_f32_16x16x32_fp8_fp8 v[12:15], a[124:125], a[44:45], v[12:15]// 000000003E90: D3F3000C 1C32597C
	s_add_u32 s84, s83, s84                                    // 000000003E98: 80545453
	s_addc_u32 s85, 0, s85                                     // 000000003E9C: 82555580
	v_mfma_f32_16x16x32_fp8_fp8 v[12:15], a[126:127], a[46:47], v[12:15]// 000000003EA0: D3F3000C 1C325D7E
	v_fma_f32 v136, v8, v6, v136                               // 000000003EA8: D1CB0088 06220D08
	v_fma_f32 v137, v9, v6, v137                               // 000000003EB0: D1CB0089 06260D09
	v_fma_f32 v138, v10, v6, v138                              // 000000003EB8: D1CB008A 062A0D0A
	v_fma_f32 v139, v11, v6, v139                              // 000000003EC0: D1CB008B 062E0D0B
	v_fma_f32 v160, v12, v6, v160                              // 000000003EC8: D1CB00A0 06820D0C
	v_fma_f32 v161, v13, v6, v161                              // 000000003ED0: D1CB00A1 06860D0D
	v_fma_f32 v162, v14, v6, v162                              // 000000003ED8: D1CB00A2 068A0D0E
	v_fma_f32 v163, v15, v6, v163                              // 000000003EE0: D1CB00A3 068E0D0F
	s_addk_i32 s80, 0x80                                       // 000000003EE8: B7500080
	s_cmp_lt_i32 s80, s81                                      // 000000003EEC: BF045150
	s_cbranch_scc0 label_076E                                  // 000000003EF0: BF840231
	s_waitcnt vmcnt(2) lgkmcnt(0)                              // 000000003EF4: BF8C0072
	s_barrier                                                  // 000000003EF8: BF8A0000
	v_mov_b32_e32 v46, v40                                     // 000000003EFC: 7E5C0328
	v_mov_b32_e32 v47, v41                                     // 000000003F00: 7E5E0329
	v_mov_b32_e32 v48, v42                                     // 000000003F04: 7E60032A
	v_mov_b32_e32 v49, v43                                     // 000000003F08: 7E62032B
	v_mov_b32_e32 v50, v44                                     // 000000003F0C: 7E64032C
	v_mov_b32_e32 v51, v45                                     // 000000003F10: 7E66032D
	v_mul_f32_dpp v4, v24, v46 row_newbcast:0 row_mask:0xf bank_mask:0xf// 000000003F14: 0A085CFA FF015018
	v_mfma_f32_16x16x32_fp8_fp8 v[8:11], a[96:97], a[48:49], 0 // 000000003F1C: D3F30008 1A026160
	buffer_load_dword v27, v23, s[32:35], 0 offen              // 000000003F24: E0501000 80081B17
	v_mfma_f32_16x16x32_fp8_fp8 v[8:11], a[98:99], a[50:51], v[8:11]// 000000003F2C: D3F30008 1C226562
	buffer_load_dwordx4 a[112:115], v64, s[84:87], 0 offen     // 000000003F34: E05C1000 80957040
	v_mfma_f32_16x16x32_fp8_fp8 v[8:11], a[100:101], a[52:53], v[8:11]// 000000003F3C: D3F30008 1C226964
	v_mfma_f32_16x16x32_fp8_fp8 v[8:11], a[102:103], a[54:55], v[8:11]// 000000003F44: D3F30008 1C226D66
	v_mul_f32_dpp v6, v24, v47 row_newbcast:0 row_mask:0xf bank_mask:0xf// 000000003F4C: 0A0C5EFA FF015018
	v_mfma_f32_16x16x32_fp8_fp8 v[12:15], a[96:97], a[56:57], 0// 000000003F54: D3F3000C 1A027160
	v_mfma_f32_16x16x32_fp8_fp8 v[12:15], a[98:99], a[58:59], v[12:15]// 000000003F5C: D3F3000C 1C327562
	buffer_load_dwordx4 a[116:119], v64, s[84:87], 0 offen offset:1024// 000000003F64: E05C1400 80957440
	v_mfma_f32_16x16x32_fp8_fp8 v[12:15], a[100:101], a[60:61], v[12:15]// 000000003F6C: D3F3000C 1C327964
	v_mfma_f32_16x16x32_fp8_fp8 v[12:15], a[102:103], a[62:63], v[12:15]// 000000003F74: D3F3000C 1C327D66
	v_fma_f32 v68, v8, v4, v68                                 // 000000003F7C: D1CB0044 05120908
	v_fma_f32 v69, v9, v4, v69                                 // 000000003F84: D1CB0045 05160909
	v_fma_f32 v70, v10, v4, v70                                // 000000003F8C: D1CB0046 051A090A
	v_fma_f32 v71, v11, v4, v71                                // 000000003F94: D1CB0047 051E090B
	v_mul_f32_dpp v4, v24, v48 row_newbcast:0 row_mask:0xf bank_mask:0xf// 000000003F9C: 0A0860FA FF015018
	v_mfma_f32_16x16x32_fp8_fp8 v[8:11], a[96:97], a[64:65], 0 // 000000003FA4: D3F30008 1A028160
	v_mfma_f32_16x16x32_fp8_fp8 v[8:11], a[98:99], a[66:67], v[8:11]// 000000003FAC: D3F30008 1C228562
	buffer_load_dwordx4 a[120:123], v65, s[84:87], 0 offen     // 000000003FB4: E05C1000 80957841
	v_mfma_f32_16x16x32_fp8_fp8 v[8:11], a[100:101], a[68:69], v[8:11]// 000000003FBC: D3F30008 1C228964
	v_mfma_f32_16x16x32_fp8_fp8 v[8:11], a[102:103], a[70:71], v[8:11]// 000000003FC4: D3F30008 1C228D66
	v_fma_f32 v72, v12, v6, v72                                // 000000003FCC: D1CB0048 05220D0C
	v_fma_f32 v73, v13, v6, v73                                // 000000003FD4: D1CB0049 05260D0D
	v_fma_f32 v74, v14, v6, v74                                // 000000003FDC: D1CB004A 052A0D0E
	v_fma_f32 v75, v15, v6, v75                                // 000000003FE4: D1CB004B 052E0D0F
	v_mul_f32_dpp v6, v24, v49 row_newbcast:0 row_mask:0xf bank_mask:0xf// 000000003FEC: 0A0C62FA FF015018
	v_mfma_f32_16x16x32_fp8_fp8 v[12:15], a[96:97], a[72:73], 0// 000000003FF4: D3F3000C 1A029160
	v_mfma_f32_16x16x32_fp8_fp8 v[12:15], a[98:99], a[74:75], v[12:15]// 000000003FFC: D3F3000C 1C329562
	buffer_load_dwordx4 a[124:127], v65, s[84:87], 0 offen offset:1024// 000000004004: E05C1400 80957C41
	buffer_load_dword v52, s[20:23], 0 offen lds               // 00000000400C: E0511000 80050034
	s_add_u32 m0, 0x100, s49                                   // 000000004014: 807C31FF 00000100
	v_mfma_f32_16x16x32_fp8_fp8 v[12:15], a[100:101], a[76:77], v[12:15]// 00000000401C: D3F3000C 1C329964
	v_mfma_f32_16x16x32_fp8_fp8 v[12:15], a[102:103], a[78:79], v[12:15]// 000000004024: D3F3000C 1C329D66
	buffer_load_dword v53, s[20:23], 0 offen lds               // 00000000402C: E0511000 80050035
	s_add_u32 m0, 0x200, s49                                   // 000000004034: 807C31FF 00000200
	v_fma_f32 v76, v8, v4, v76                                 // 00000000403C: D1CB004C 05320908
	v_fma_f32 v77, v9, v4, v77                                 // 000000004044: D1CB004D 05360909
	v_fma_f32 v78, v10, v4, v78                                // 00000000404C: D1CB004E 053A090A
	v_fma_f32 v79, v11, v4, v79                                // 000000004054: D1CB004F 053E090B
	v_mul_f32_dpp v4, v24, v50 row_newbcast:0 row_mask:0xf bank_mask:0xf// 00000000405C: 0A0864FA FF015018
	v_mfma_f32_16x16x32_fp8_fp8 v[8:11], a[96:97], a[80:81], 0 // 000000004064: D3F30008 1A02A160
	v_mfma_f32_16x16x32_fp8_fp8 v[8:11], a[98:99], a[82:83], v[8:11]// 00000000406C: D3F30008 1C22A562
	buffer_load_dword v54, s[20:23], 0 offen lds               // 000000004074: E0511000 80050036
	s_add_u32 m0, 0x300, s49                                   // 00000000407C: 807C31FF 00000300
	v_mfma_f32_16x16x32_fp8_fp8 v[8:11], a[100:101], a[84:85], v[8:11]// 000000004084: D3F30008 1C22A964
	v_mfma_f32_16x16x32_fp8_fp8 v[8:11], a[102:103], a[86:87], v[8:11]// 00000000408C: D3F30008 1C22AD66
	buffer_load_dword v55, s[20:23], 0 offen lds               // 000000004094: E0511000 80050037
	s_add_u32 m0, 0x400, s49                                   // 00000000409C: 807C31FF 00000400
	v_fma_f32 v80, v12, v6, v80                                // 0000000040A4: D1CB0050 05420D0C
	v_fma_f32 v81, v13, v6, v81                                // 0000000040AC: D1CB0051 05460D0D
	v_fma_f32 v82, v14, v6, v82                                // 0000000040B4: D1CB0052 054A0D0E
	v_fma_f32 v83, v15, v6, v83                                // 0000000040BC: D1CB0053 054E0D0F
	v_mul_f32_dpp v6, v24, v51 row_newbcast:0 row_mask:0xf bank_mask:0xf// 0000000040C4: 0A0C66FA FF015018
	v_mfma_f32_16x16x32_fp8_fp8 v[12:15], a[96:97], a[88:89], 0// 0000000040CC: D3F3000C 1A02B160
	v_mfma_f32_16x16x32_fp8_fp8 v[12:15], a[98:99], a[90:91], v[12:15]// 0000000040D4: D3F3000C 1C32B562
	buffer_load_dword v56, s[20:23], 0 offen lds               // 0000000040DC: E0511000 80050038
	s_add_u32 m0, 0x500, s49                                   // 0000000040E4: 807C31FF 00000500
	v_mfma_f32_16x16x32_fp8_fp8 v[12:15], a[100:101], a[92:93], v[12:15]// 0000000040EC: D3F3000C 1C32B964
	v_mfma_f32_16x16x32_fp8_fp8 v[12:15], a[102:103], a[94:95], v[12:15]// 0000000040F4: D3F3000C 1C32BD66
	buffer_load_dword v57, s[20:23], 0 offen lds               // 0000000040FC: E0511000 80050039
	s_add_u32 m0, 0x600, s49                                   // 000000004104: 807C31FF 00000600
	v_fma_f32 v84, v8, v4, v84                                 // 00000000410C: D1CB0054 05520908
	v_fma_f32 v85, v9, v4, v85                                 // 000000004114: D1CB0055 05560909
	v_fma_f32 v86, v10, v4, v86                                // 00000000411C: D1CB0056 055A090A
	v_fma_f32 v87, v11, v4, v87                                // 000000004124: D1CB0057 055E090B
	s_waitcnt vmcnt(11)                                        // 00000000412C: BF8C0F7B
	v_mul_f32_dpp v4, v24, v46 row_newbcast:0 row_mask:0xf bank_mask:0xf// 000000004130: 0A085CFA FF015018
	v_mfma_f32_16x16x32_fp8_fp8 v[8:11], a[104:105], a[48:49], 0// 000000004138: D3F30008 1A026168
	v_mfma_f32_16x16x32_fp8_fp8 v[8:11], a[106:107], a[50:51], v[8:11]// 000000004140: D3F30008 1C22656A
	buffer_load_dword v58, s[20:23], 0 offen lds               // 000000004148: E0511000 8005003A
	s_add_u32 m0, 0x700, s49                                   // 000000004150: 807C31FF 00000700
	v_mfma_f32_16x16x32_fp8_fp8 v[8:11], a[108:109], a[52:53], v[8:11]// 000000004158: D3F30008 1C22696C
	v_mfma_f32_16x16x32_fp8_fp8 v[8:11], a[110:111], a[54:55], v[8:11]// 000000004160: D3F30008 1C226D6E
	buffer_load_dword v59, s[20:23], 0 offen lds               // 000000004168: E0511000 8005003B
	s_add_u32 m0, 0x800, s49                                   // 000000004170: 807C31FF 00000800
	v_fma_f32 v88, v12, v6, v88                                // 000000004178: D1CB0058 05620D0C
	v_fma_f32 v89, v13, v6, v89                                // 000000004180: D1CB0059 05660D0D
	v_fma_f32 v90, v14, v6, v90                                // 000000004188: D1CB005A 056A0D0E
	v_fma_f32 v91, v15, v6, v91                                // 000000004190: D1CB005B 056E0D0F
	v_mul_f32_dpp v6, v24, v47 row_newbcast:0 row_mask:0xf bank_mask:0xf// 000000004198: 0A0C5EFA FF015018
	v_mfma_f32_16x16x32_fp8_fp8 v[12:15], a[104:105], a[56:57], 0// 0000000041A0: D3F3000C 1A027168
	v_mfma_f32_16x16x32_fp8_fp8 v[12:15], a[106:107], a[58:59], v[12:15]// 0000000041A8: D3F3000C 1C32756A
	buffer_load_dword v60, s[20:23], 0 offen lds               // 0000000041B0: E0511000 8005003C
	s_add_u32 m0, 0x900, s49                                   // 0000000041B8: 807C31FF 00000900
	v_mfma_f32_16x16x32_fp8_fp8 v[12:15], a[108:109], a[60:61], v[12:15]// 0000000041C0: D3F3000C 1C32796C
	v_mfma_f32_16x16x32_fp8_fp8 v[12:15], a[110:111], a[62:63], v[12:15]// 0000000041C8: D3F3000C 1C327D6E
	buffer_load_dword v61, s[20:23], 0 offen lds               // 0000000041D0: E0511000 8005003D
	s_add_u32 m0, 0xa00, s49                                   // 0000000041D8: 807C31FF 00000A00
	v_fma_f32 v92, v8, v4, v92                                 // 0000000041E0: D1CB005C 05720908
	v_fma_f32 v93, v9, v4, v93                                 // 0000000041E8: D1CB005D 05760909
	v_fma_f32 v94, v10, v4, v94                                // 0000000041F0: D1CB005E 057A090A
	v_fma_f32 v95, v11, v4, v95                                // 0000000041F8: D1CB005F 057E090B
	v_mul_f32_dpp v4, v24, v48 row_newbcast:0 row_mask:0xf bank_mask:0xf// 000000004200: 0A0860FA FF015018
	v_mfma_f32_16x16x32_fp8_fp8 v[8:11], a[104:105], a[64:65], 0// 000000004208: D3F30008 1A028168
	v_mfma_f32_16x16x32_fp8_fp8 v[8:11], a[106:107], a[66:67], v[8:11]// 000000004210: D3F30008 1C22856A
	buffer_load_dword v62, s[20:23], 0 offen lds               // 000000004218: E0511000 8005003E
	s_add_u32 m0, 0xb00, s49                                   // 000000004220: 807C31FF 00000B00
	v_mfma_f32_16x16x32_fp8_fp8 v[8:11], a[108:109], a[68:69], v[8:11]// 000000004228: D3F30008 1C22896C
	v_mfma_f32_16x16x32_fp8_fp8 v[8:11], a[110:111], a[70:71], v[8:11]// 000000004230: D3F30008 1C228D6E
	buffer_load_dword v63, s[20:23], 0 offen lds               // 000000004238: E0511000 8005003F
	s_add_u32 m0, 0, s48                                       // 000000004240: 807C3080
	v_fma_f32 v96, v12, v6, v96                                // 000000004244: D1CB0060 05820D0C
	v_fma_f32 v97, v13, v6, v97                                // 00000000424C: D1CB0061 05860D0D
	v_fma_f32 v98, v14, v6, v98                                // 000000004254: D1CB0062 058A0D0E
	v_fma_f32 v99, v15, v6, v99                                // 00000000425C: D1CB0063 058E0D0F
	v_mul_f32_dpp v6, v24, v49 row_newbcast:0 row_mask:0xf bank_mask:0xf// 000000004264: 0A0C62FA FF015018
	v_mfma_f32_16x16x32_fp8_fp8 v[12:15], a[104:105], a[72:73], 0// 00000000426C: D3F3000C 1A029168
	v_mfma_f32_16x16x32_fp8_fp8 v[12:15], a[106:107], a[74:75], v[12:15]// 000000004274: D3F3000C 1C32956A
	buffer_load_dword v40, v28, s[28:31], 0 offen              // 00000000427C: E0501000 8007281C
	v_mfma_f32_16x16x32_fp8_fp8 v[12:15], a[108:109], a[76:77], v[12:15]// 000000004284: D3F3000C 1C32996C
	v_mfma_f32_16x16x32_fp8_fp8 v[12:15], a[110:111], a[78:79], v[12:15]// 00000000428C: D3F3000C 1C329D6E
	buffer_load_dword v41, v29, s[28:31], 0 offen              // 000000004294: E0501000 8007291D
	v_fma_f32 v100, v8, v4, v100                               // 00000000429C: D1CB0064 05920908
	v_fma_f32 v101, v9, v4, v101                               // 0000000042A4: D1CB0065 05960909
	v_fma_f32 v102, v10, v4, v102                              // 0000000042AC: D1CB0066 059A090A
	v_fma_f32 v103, v11, v4, v103                              // 0000000042B4: D1CB0067 059E090B
	v_mul_f32_dpp v4, v24, v50 row_newbcast:0 row_mask:0xf bank_mask:0xf// 0000000042BC: 0A0864FA FF015018
	v_mfma_f32_16x16x32_fp8_fp8 v[8:11], a[104:105], a[80:81], 0// 0000000042C4: D3F30008 1A02A168
	v_mfma_f32_16x16x32_fp8_fp8 v[8:11], a[106:107], a[82:83], v[8:11]// 0000000042CC: D3F30008 1C22A56A
	buffer_load_dword v42, v30, s[28:31], 0 offen              // 0000000042D4: E0501000 80072A1E
	v_mfma_f32_16x16x32_fp8_fp8 v[8:11], a[108:109], a[84:85], v[8:11]// 0000000042DC: D3F30008 1C22A96C
	v_mfma_f32_16x16x32_fp8_fp8 v[8:11], a[110:111], a[86:87], v[8:11]// 0000000042E4: D3F30008 1C22AD6E
	buffer_load_dword v43, v31, s[28:31], 0 offen              // 0000000042EC: E0501000 80072B1F
	v_fma_f32 v104, v12, v6, v104                              // 0000000042F4: D1CB0068 05A20D0C
	v_fma_f32 v105, v13, v6, v105                              // 0000000042FC: D1CB0069 05A60D0D
	v_fma_f32 v106, v14, v6, v106                              // 000000004304: D1CB006A 05AA0D0E
	v_fma_f32 v107, v15, v6, v107                              // 00000000430C: D1CB006B 05AE0D0F
	v_mul_f32_dpp v6, v24, v51 row_newbcast:0 row_mask:0xf bank_mask:0xf// 000000004314: 0A0C66FA FF015018
	v_mfma_f32_16x16x32_fp8_fp8 v[12:15], a[104:105], a[88:89], 0// 00000000431C: D3F3000C 1A02B168
	v_mfma_f32_16x16x32_fp8_fp8 v[12:15], a[106:107], a[90:91], v[12:15]// 000000004324: D3F3000C 1C32B56A
	buffer_load_dword v44, v32, s[28:31], 0 offen              // 00000000432C: E0501000 80072C20
	s_add_u32 s60, 0x80, s80                                   // 000000004334: 803C50FF 00000080
	s_cmp_lt_u32 s60, s81                                      // 00000000433C: BF0A513C
	s_cselect_b32 s83, s83, 0                                  // 000000004340: 85538053
	s_cselect_b32 s4, s4, 0                                    // 000000004344: 85048004
	v_mfma_f32_16x16x32_fp8_fp8 v[12:15], a[108:109], a[92:93], v[12:15]// 000000004348: D3F3000C 1C32B96C
	s_add_u32 s32, s4, s32                                     // 000000004350: 80202004
	s_addc_u32 s33, 0, s33                                     // 000000004354: 82212180
	v_mfma_f32_16x16x32_fp8_fp8 v[12:15], a[110:111], a[94:95], v[12:15]// 000000004358: D3F3000C 1C32BD6E
	buffer_load_dword v45, v33, s[28:31], 0 offen              // 000000004360: E0501000 80072D21
	v_fma_f32 v108, v8, v4, v108                               // 000000004368: D1CB006C 05B20908
	v_fma_f32 v109, v9, v4, v109                               // 000000004370: D1CB006D 05B60909
	v_fma_f32 v110, v10, v4, v110                              // 000000004378: D1CB006E 05BA090A
	v_fma_f32 v111, v11, v4, v111                              // 000000004380: D1CB006F 05BE090B
	v_fma_f32 v112, v12, v6, v112                              // 000000004388: D1CB0070 05C20D0C
	v_fma_f32 v113, v13, v6, v113                              // 000000004390: D1CB0071 05C60D0D
	v_fma_f32 v114, v14, v6, v114                              // 000000004398: D1CB0072 05CA0D0E
	v_fma_f32 v115, v15, v6, v115                              // 0000000043A0: D1CB0073 05CE0D0F
	s_waitcnt vmcnt(18)                                        // 0000000043A8: BF8C4F72
	v_mul_f32_dpp v4, v27, v46 row_newbcast:0 row_mask:0xf bank_mask:0xf// 0000000043AC: 0A085CFA FF01501B
	v_mfma_f32_16x16x32_fp8_fp8 v[8:11], a[112:113], a[48:49], 0// 0000000043B4: D3F30008 1A026170
	buffer_load_dword v24, v22, s[32:35], 0 offen              // 0000000043BC: E0501000 80081816
	v_mfma_f32_16x16x32_fp8_fp8 v[8:11], a[114:115], a[50:51], v[8:11]// 0000000043C4: D3F30008 1C226572
	buffer_load_dwordx4 a[96:99], v64, s[24:27], 0 offen       // 0000000043CC: E05C1000 80866040
	v_mfma_f32_16x16x32_fp8_fp8 v[8:11], a[116:117], a[52:53], v[8:11]// 0000000043D4: D3F30008 1C226974
	v_mfma_f32_16x16x32_fp8_fp8 v[8:11], a[118:119], a[54:55], v[8:11]// 0000000043DC: D3F30008 1C226D76
	ds_read_b128 a[0:3], v2                                    // 0000000043E4: DBFE0000 00000002
	ds_read_b128 a[4:7], v2 offset:64                          // 0000000043EC: DBFE0040 04000002
	v_mfma_f32_16x16x32_fp8_fp8 v[12:15], a[120:121], a[48:49], 0// 0000000043F4: D3F3000C 1A026178
	v_mfma_f32_16x16x32_fp8_fp8 v[12:15], a[122:123], a[50:51], v[12:15]// 0000000043FC: D3F3000C 1C32657A
	buffer_load_dwordx4 a[100:103], v64, s[24:27], 0 offen offset:1024// 000000004404: E05C1400 80866440
	v_mfma_f32_16x16x32_fp8_fp8 v[12:15], a[124:125], a[52:53], v[12:15]// 00000000440C: D3F3000C 1C32697C
	v_mfma_f32_16x16x32_fp8_fp8 v[12:15], a[126:127], a[54:55], v[12:15]// 000000004414: D3F3000C 1C326D7E
	ds_read_b128 a[8:11], v2 offset:512                        // 00000000441C: DBFE0200 08000002
	ds_read_b128 a[12:15], v2 offset:576                       // 000000004424: DBFE0240 0C000002
	v_fma_f32 v116, v8, v4, v116                               // 00000000442C: D1CB0074 05D20908
	v_fma_f32 v117, v9, v4, v117                               // 000000004434: D1CB0075 05D60909
	v_fma_f32 v118, v10, v4, v118                              // 00000000443C: D1CB0076 05DA090A
	v_fma_f32 v119, v11, v4, v119                              // 000000004444: D1CB0077 05DE090B
	v_mul_f32_dpp v6, v27, v47 row_newbcast:0 row_mask:0xf bank_mask:0xf// 00000000444C: 0A0C5EFA FF01501B
	v_mfma_f32_16x16x32_fp8_fp8 v[8:11], a[112:113], a[56:57], 0// 000000004454: D3F30008 1A027170
	v_mfma_f32_16x16x32_fp8_fp8 v[8:11], a[114:115], a[58:59], v[8:11]// 00000000445C: D3F30008 1C227572
	buffer_load_dwordx4 a[104:107], v65, s[24:27], 0 offen     // 000000004464: E05C1000 80866841
	v_mfma_f32_16x16x32_fp8_fp8 v[8:11], a[116:117], a[60:61], v[8:11]// 00000000446C: D3F30008 1C227974
	v_mfma_f32_16x16x32_fp8_fp8 v[8:11], a[118:119], a[62:63], v[8:11]// 000000004474: D3F30008 1C227D76
	ds_read_b128 a[16:19], v2 offset:1024                      // 00000000447C: DBFE0400 10000002
	ds_read_b128 a[20:23], v2 offset:1088                      // 000000004484: DBFE0440 14000002
	v_fma_f32 v140, v12, v4, v140                              // 00000000448C: D1CB008C 0632090C
	v_fma_f32 v141, v13, v4, v141                              // 000000004494: D1CB008D 0636090D
	v_fma_f32 v142, v14, v4, v142                              // 00000000449C: D1CB008E 063A090E
	v_fma_f32 v143, v15, v4, v143                              // 0000000044A4: D1CB008F 063E090F
	v_mfma_f32_16x16x32_fp8_fp8 v[12:15], a[120:121], a[56:57], 0// 0000000044AC: D3F3000C 1A027178
	v_mfma_f32_16x16x32_fp8_fp8 v[12:15], a[122:123], a[58:59], v[12:15]// 0000000044B4: D3F3000C 1C32757A
	buffer_load_dwordx4 a[108:111], v65, s[24:27], 0 offen offset:1024// 0000000044BC: E05C1400 80866C41
	v_mfma_f32_16x16x32_fp8_fp8 v[12:15], a[124:125], a[60:61], v[12:15]// 0000000044C4: D3F3000C 1C32797C
	v_mfma_f32_16x16x32_fp8_fp8 v[12:15], a[126:127], a[62:63], v[12:15]// 0000000044CC: D3F3000C 1C327D7E
	ds_read_b128 a[24:27], v2 offset:1536                      // 0000000044D4: DBFE0600 18000002
	ds_read_b128 a[28:31], v2 offset:1600                      // 0000000044DC: DBFE0640 1C000002
	v_fma_f32 v120, v8, v6, v120                               // 0000000044E4: D1CB0078 05E20D08
	v_fma_f32 v121, v9, v6, v121                               // 0000000044EC: D1CB0079 05E60D09
	v_fma_f32 v122, v10, v6, v122                              // 0000000044F4: D1CB007A 05EA0D0A
	v_fma_f32 v123, v11, v6, v123                              // 0000000044FC: D1CB007B 05EE0D0B
	v_mul_f32_dpp v4, v27, v48 row_newbcast:0 row_mask:0xf bank_mask:0xf// 000000004504: 0A0860FA FF01501B
	v_mfma_f32_16x16x32_fp8_fp8 v[8:11], a[112:113], a[64:65], 0// 00000000450C: D3F30008 1A028170
	v_mfma_f32_16x16x32_fp8_fp8 v[8:11], a[114:115], a[66:67], v[8:11]// 000000004514: D3F30008 1C228572
	v_mfma_f32_16x16x32_fp8_fp8 v[8:11], a[116:117], a[68:69], v[8:11]// 00000000451C: D3F30008 1C228974
	v_mfma_f32_16x16x32_fp8_fp8 v[8:11], a[118:119], a[70:71], v[8:11]// 000000004524: D3F30008 1C228D76
	ds_read_b128 a[32:35], v2 offset:2048                      // 00000000452C: DBFE0800 20000002
	ds_read_b128 a[36:39], v2 offset:2112                      // 000000004534: DBFE0840 24000002
	v_fma_f32 v144, v12, v6, v144                              // 00000000453C: D1CB0090 06420D0C
	v_fma_f32 v145, v13, v6, v145                              // 000000004544: D1CB0091 06460D0D
	v_fma_f32 v146, v14, v6, v146                              // 00000000454C: D1CB0092 064A0D0E
	v_fma_f32 v147, v15, v6, v147                              // 000000004554: D1CB0093 064E0D0F
	v_mfma_f32_16x16x32_fp8_fp8 v[12:15], a[120:121], a[64:65], 0// 00000000455C: D3F3000C 1A028178
	v_mfma_f32_16x16x32_fp8_fp8 v[12:15], a[122:123], a[66:67], v[12:15]// 000000004564: D3F3000C 1C32857A
	v_mfma_f32_16x16x32_fp8_fp8 v[12:15], a[124:125], a[68:69], v[12:15]// 00000000456C: D3F3000C 1C32897C
	v_mfma_f32_16x16x32_fp8_fp8 v[12:15], a[126:127], a[70:71], v[12:15]// 000000004574: D3F3000C 1C328D7E
	ds_read_b128 a[40:43], v2 offset:2560                      // 00000000457C: DBFE0A00 28000002
	ds_read_b128 a[44:47], v2 offset:2624                      // 000000004584: DBFE0A40 2C000002
	v_fma_f32 v124, v8, v4, v124                               // 00000000458C: D1CB007C 05F20908
	v_fma_f32 v125, v9, v4, v125                               // 000000004594: D1CB007D 05F60909
	v_fma_f32 v126, v10, v4, v126                              // 00000000459C: D1CB007E 05FA090A
	v_fma_f32 v127, v11, v4, v127                              // 0000000045A4: D1CB007F 05FE090B
	v_mul_f32_dpp v6, v27, v49 row_newbcast:0 row_mask:0xf bank_mask:0xf// 0000000045AC: 0A0C62FA FF01501B
	v_mfma_f32_16x16x32_fp8_fp8 v[8:11], a[112:113], a[72:73], 0// 0000000045B4: D3F30008 1A029170
	v_mfma_f32_16x16x32_fp8_fp8 v[8:11], a[114:115], a[74:75], v[8:11]// 0000000045BC: D3F30008 1C229572
	v_mfma_f32_16x16x32_fp8_fp8 v[8:11], a[116:117], a[76:77], v[8:11]// 0000000045C4: D3F30008 1C229974
	v_mfma_f32_16x16x32_fp8_fp8 v[8:11], a[118:119], a[78:79], v[8:11]// 0000000045CC: D3F30008 1C229D76
	v_fma_f32 v148, v12, v4, v148                              // 0000000045D4: D1CB0094 0652090C
	v_fma_f32 v149, v13, v4, v149                              // 0000000045DC: D1CB0095 0656090D
	v_fma_f32 v150, v14, v4, v150                              // 0000000045E4: D1CB0096 065A090E
	v_fma_f32 v151, v15, v4, v151                              // 0000000045EC: D1CB0097 065E090F
	v_mfma_f32_16x16x32_fp8_fp8 v[12:15], a[120:121], a[72:73], 0// 0000000045F4: D3F3000C 1A029178
	v_mfma_f32_16x16x32_fp8_fp8 v[12:15], a[122:123], a[74:75], v[12:15]// 0000000045FC: D3F3000C 1C32957A
	v_mfma_f32_16x16x32_fp8_fp8 v[12:15], a[124:125], a[76:77], v[12:15]// 000000004604: D3F3000C 1C32997C
	v_mfma_f32_16x16x32_fp8_fp8 v[12:15], a[126:127], a[78:79], v[12:15]// 00000000460C: D3F3000C 1C329D7E
	v_fma_f32 v128, v8, v6, v128                               // 000000004614: D1CB0080 06020D08
	v_fma_f32 v129, v9, v6, v129                               // 00000000461C: D1CB0081 06060D09
	v_fma_f32 v130, v10, v6, v130                              // 000000004624: D1CB0082 060A0D0A
	v_fma_f32 v131, v11, v6, v131                              // 00000000462C: D1CB0083 060E0D0B
	v_mul_f32_dpp v4, v27, v50 row_newbcast:0 row_mask:0xf bank_mask:0xf// 000000004634: 0A0864FA FF01501B
	v_mfma_f32_16x16x32_fp8_fp8 v[8:11], a[112:113], a[80:81], 0// 00000000463C: D3F30008 1A02A170
	v_mfma_f32_16x16x32_fp8_fp8 v[8:11], a[114:115], a[82:83], v[8:11]// 000000004644: D3F30008 1C22A572
	v_mfma_f32_16x16x32_fp8_fp8 v[8:11], a[116:117], a[84:85], v[8:11]// 00000000464C: D3F30008 1C22A974
	v_mfma_f32_16x16x32_fp8_fp8 v[8:11], a[118:119], a[86:87], v[8:11]// 000000004654: D3F30008 1C22AD76
	v_fma_f32 v152, v12, v6, v152                              // 00000000465C: D1CB0098 06620D0C
	v_fma_f32 v153, v13, v6, v153                              // 000000004664: D1CB0099 06660D0D
	v_fma_f32 v154, v14, v6, v154                              // 00000000466C: D1CB009A 066A0D0E
	v_fma_f32 v155, v15, v6, v155                              // 000000004674: D1CB009B 066E0D0F
	v_mfma_f32_16x16x32_fp8_fp8 v[12:15], a[120:121], a[80:81], 0// 00000000467C: D3F3000C 1A02A178
	v_mfma_f32_16x16x32_fp8_fp8 v[12:15], a[122:123], a[82:83], v[12:15]// 000000004684: D3F3000C 1C32A57A
	v_mfma_f32_16x16x32_fp8_fp8 v[12:15], a[124:125], a[84:85], v[12:15]// 00000000468C: D3F3000C 1C32A97C
	v_mfma_f32_16x16x32_fp8_fp8 v[12:15], a[126:127], a[86:87], v[12:15]// 000000004694: D3F3000C 1C32AD7E
	v_fma_f32 v132, v8, v4, v132                               // 00000000469C: D1CB0084 06120908
	v_fma_f32 v133, v9, v4, v133                               // 0000000046A4: D1CB0085 06160909
	v_fma_f32 v134, v10, v4, v134                              // 0000000046AC: D1CB0086 061A090A
	v_fma_f32 v135, v11, v4, v135                              // 0000000046B4: D1CB0087 061E090B
	v_mul_f32_dpp v6, v27, v51 row_newbcast:0 row_mask:0xf bank_mask:0xf// 0000000046BC: 0A0C66FA FF01501B
	v_mfma_f32_16x16x32_fp8_fp8 v[8:11], a[112:113], a[88:89], 0// 0000000046C4: D3F30008 1A02B170
	v_mfma_f32_16x16x32_fp8_fp8 v[8:11], a[114:115], a[90:91], v[8:11]// 0000000046CC: D3F30008 1C22B572
	v_mfma_f32_16x16x32_fp8_fp8 v[8:11], a[116:117], a[92:93], v[8:11]// 0000000046D4: D3F30008 1C22B974
	s_add_u32 s60, 0x180, s80                                  // 0000000046DC: 803C50FF 00000180
	s_cmp_lt_u32 s60, s81                                      // 0000000046E4: BF0A513C
	s_cselect_b32 s57, s57, 0                                  // 0000000046E8: 85398039
	s_cselect_b32 s3, s3, 0                                    // 0000000046EC: 85038003
	v_mfma_f32_16x16x32_fp8_fp8 v[8:11], a[118:119], a[94:95], v[8:11]// 0000000046F0: D3F30008 1C22BD76
	s_add_u32 s60, 0x100, s80                                  // 0000000046F8: 803C50FF 00000100
	s_cmp_lt_u32 s60, s81                                      // 000000004700: BF0A513C
	s_cselect_b32 s58, s58, 0                                  // 000000004704: 853A803A
	v_fma_f32 v156, v12, v4, v156                              // 000000004708: D1CB009C 0672090C
	v_fma_f32 v157, v13, v4, v157                              // 000000004710: D1CB009D 0676090D
	v_fma_f32 v158, v14, v4, v158                              // 000000004718: D1CB009E 067A090E
	v_fma_f32 v159, v15, v4, v159                              // 000000004720: D1CB009F 067E090F
	v_mfma_f32_16x16x32_fp8_fp8 v[12:15], a[120:121], a[88:89], 0// 000000004728: D3F3000C 1A02B178
	s_add_u32 s24, s58, s24                                    // 000000004730: 8018183A
	s_addc_u32 s25, 0, s25                                     // 000000004734: 82191980
	v_mfma_f32_16x16x32_fp8_fp8 v[12:15], a[122:123], a[90:91], v[12:15]// 000000004738: D3F3000C 1C32B57A
	s_add_u32 s20, s57, s20                                    // 000000004740: 80141439
	s_addc_u32 s21, 0, s21                                     // 000000004744: 82151580
	s_add_u32 s28, s3, s28                                     // 000000004748: 801C1C03
	s_addc_u32 s29, 0, s29                                     // 00000000474C: 821D1D80
	v_mfma_f32_16x16x32_fp8_fp8 v[12:15], a[124:125], a[92:93], v[12:15]// 000000004750: D3F3000C 1C32B97C
	s_add_u32 s84, s83, s84                                    // 000000004758: 80545453
	s_addc_u32 s85, 0, s85                                     // 00000000475C: 82555580
	v_mfma_f32_16x16x32_fp8_fp8 v[12:15], a[126:127], a[94:95], v[12:15]// 000000004760: D3F3000C 1C32BD7E
	v_fma_f32 v136, v8, v6, v136                               // 000000004768: D1CB0088 06220D08
	v_fma_f32 v137, v9, v6, v137                               // 000000004770: D1CB0089 06260D09
	v_fma_f32 v138, v10, v6, v138                              // 000000004778: D1CB008A 062A0D0A
	v_fma_f32 v139, v11, v6, v139                              // 000000004780: D1CB008B 062E0D0B
	v_fma_f32 v160, v12, v6, v160                              // 000000004788: D1CB00A0 06820D0C
	v_fma_f32 v161, v13, v6, v161                              // 000000004790: D1CB00A1 06860D0D
	v_fma_f32 v162, v14, v6, v162                              // 000000004798: D1CB00A2 068A0D0E
	v_fma_f32 v163, v15, v6, v163                              // 0000000047A0: D1CB00A3 068E0D0F
	s_addk_i32 s80, 0x80                                       // 0000000047A8: B7500080
	s_cmp_lt_i32 s80, s81                                      // 0000000047AC: BF045150
	s_cbranch_scc0 label_076E                                  // 0000000047B0: BF840001
	s_branch label_030D                                        // 0000000047B4: BF82FB9F

00000000000047b8 <label_076E>:
	s_cmp_eq_u32 s88, 0                                        // 0000000047B8: BF068058
	s_cbranch_scc0 label_0F89                                  // 0000000047BC: BF840819
	s_cmp_eq_u32 s89, 0                                        // 0000000047C0: BF068059
	s_cbranch_scc1 label_0957                                  // 0000000047C4: BF8501E5
	v_mov_b32_e32 v8, v1                                       // 0000000047C8: 7E100301
	v_mov_b32_e32 v9, v1                                       // 0000000047CC: 7E120301
	s_mov_b32 s60, s6                                          // 0000000047D0: BEBC0006
	s_mov_b32 s61, s6                                          // 0000000047D4: BEBD0006
	v_pk_mul_f32 v[4:5], v[68:69], v[68:69]                    // 0000000047D8: D3B14004 18028944
	v_pk_mul_f32 v[6:7], v[70:71], v[70:71]                    // 0000000047E0: D3B14006 18028D46
	v_pk_fma_f32 v[4:5], v[4:5], s[78:79], v[8:9]              // 0000000047E8: D3B04004 1C209D04
	v_pk_fma_f32 v[6:7], v[6:7], s[78:79], v[8:9]              // 0000000047F0: D3B04006 1C209D06
	v_pk_mul_f32 v[4:5], v[4:5], v[68:69]                      // 0000000047F8: D3B14004 18028904
	v_pk_mul_f32 v[6:7], v[6:7], v[70:71]                      // 000000004800: D3B14006 18028D06
	v_pk_mul_f32 v[4:5], v[4:5], s[60:61]                      // 000000004808: D3B14004 18007904
	v_pk_mul_f32 v[6:7], v[6:7], s[60:61]                      // 000000004810: D3B14006 18007906
	v_exp_f32_e32 v4, v4                                       // 000000004818: 7E084104
	v_exp_f32_e32 v5, v5                                       // 00000000481C: 7E0A4105
	v_exp_f32_e32 v6, v6                                       // 000000004820: 7E0C4106
	v_exp_f32_e32 v7, v7                                       // 000000004824: 7E0E4107
	v_add_f32_e64 v4, v4, 1.0                                  // 000000004828: D1010004 0001E504
	v_add_f32_e64 v5, v5, 1.0                                  // 000000004830: D1010005 0001E505
	v_add_f32_e64 v6, v6, 1.0                                  // 000000004838: D1010006 0001E506
	v_add_f32_e64 v7, v7, 1.0                                  // 000000004840: D1010007 0001E507
	v_rcp_f32_e32 v4, v4                                       // 000000004848: 7E084504
	v_rcp_f32_e32 v5, v5                                       // 00000000484C: 7E0A4505
	v_rcp_f32_e32 v6, v6                                       // 000000004850: 7E0C4506
	v_rcp_f32_e32 v7, v7                                       // 000000004854: 7E0E4507
	v_mul_f32_e32 v68, v68, v4                                 // 000000004858: 0A880944
	v_mul_f32_e32 v69, v69, v5                                 // 00000000485C: 0A8A0B45
	v_mul_f32_e32 v70, v70, v6                                 // 000000004860: 0A8C0D46
	v_mul_f32_e32 v71, v71, v7                                 // 000000004864: 0A8E0F47
	v_mul_f32_e32 v68, v68, v116                               // 000000004868: 0A88E944
	v_mul_f32_e32 v69, v69, v117                               // 00000000486C: 0A8AEB45
	v_mul_f32_e32 v70, v70, v118                               // 000000004870: 0A8CED46
	v_mul_f32_e32 v71, v71, v119                               // 000000004874: 0A8EEF47
	v_pk_mul_f32 v[4:5], v[72:73], v[72:73]                    // 000000004878: D3B14004 18029148
	v_pk_mul_f32 v[6:7], v[74:75], v[74:75]                    // 000000004880: D3B14006 1802954A
	v_pk_fma_f32 v[4:5], v[4:5], s[78:79], v[8:9]              // 000000004888: D3B04004 1C209D04
	v_pk_fma_f32 v[6:7], v[6:7], s[78:79], v[8:9]              // 000000004890: D3B04006 1C209D06
	v_pk_mul_f32 v[4:5], v[4:5], v[72:73]                      // 000000004898: D3B14004 18029104
	v_pk_mul_f32 v[6:7], v[6:7], v[74:75]                      // 0000000048A0: D3B14006 18029506
	v_pk_mul_f32 v[4:5], v[4:5], s[60:61]                      // 0000000048A8: D3B14004 18007904
	v_pk_mul_f32 v[6:7], v[6:7], s[60:61]                      // 0000000048B0: D3B14006 18007906
	v_exp_f32_e32 v4, v4                                       // 0000000048B8: 7E084104
	v_exp_f32_e32 v5, v5                                       // 0000000048BC: 7E0A4105
	v_exp_f32_e32 v6, v6                                       // 0000000048C0: 7E0C4106
	v_exp_f32_e32 v7, v7                                       // 0000000048C4: 7E0E4107
	v_add_f32_e64 v4, v4, 1.0                                  // 0000000048C8: D1010004 0001E504
	v_add_f32_e64 v5, v5, 1.0                                  // 0000000048D0: D1010005 0001E505
	v_add_f32_e64 v6, v6, 1.0                                  // 0000000048D8: D1010006 0001E506
	v_add_f32_e64 v7, v7, 1.0                                  // 0000000048E0: D1010007 0001E507
	v_rcp_f32_e32 v4, v4                                       // 0000000048E8: 7E084504
	v_rcp_f32_e32 v5, v5                                       // 0000000048EC: 7E0A4505
	v_rcp_f32_e32 v6, v6                                       // 0000000048F0: 7E0C4506
	v_rcp_f32_e32 v7, v7                                       // 0000000048F4: 7E0E4507
	v_mul_f32_e32 v72, v72, v4                                 // 0000000048F8: 0A900948
	v_mul_f32_e32 v73, v73, v5                                 // 0000000048FC: 0A920B49
	v_mul_f32_e32 v74, v74, v6                                 // 000000004900: 0A940D4A
	v_mul_f32_e32 v75, v75, v7                                 // 000000004904: 0A960F4B
	v_mul_f32_e32 v72, v72, v120                               // 000000004908: 0A90F148
	v_mul_f32_e32 v73, v73, v121                               // 00000000490C: 0A92F349
	v_mul_f32_e32 v74, v74, v122                               // 000000004910: 0A94F54A
	v_mul_f32_e32 v75, v75, v123                               // 000000004914: 0A96F74B
	v_pk_mul_f32 v[4:5], v[76:77], v[76:77]                    // 000000004918: D3B14004 1802994C
	v_pk_mul_f32 v[6:7], v[78:79], v[78:79]                    // 000000004920: D3B14006 18029D4E
	v_pk_fma_f32 v[4:5], v[4:5], s[78:79], v[8:9]              // 000000004928: D3B04004 1C209D04
	v_pk_fma_f32 v[6:7], v[6:7], s[78:79], v[8:9]              // 000000004930: D3B04006 1C209D06
	v_pk_mul_f32 v[4:5], v[4:5], v[76:77]                      // 000000004938: D3B14004 18029904
	v_pk_mul_f32 v[6:7], v[6:7], v[78:79]                      // 000000004940: D3B14006 18029D06
	v_pk_mul_f32 v[4:5], v[4:5], s[60:61]                      // 000000004948: D3B14004 18007904
	v_pk_mul_f32 v[6:7], v[6:7], s[60:61]                      // 000000004950: D3B14006 18007906
	v_exp_f32_e32 v4, v4                                       // 000000004958: 7E084104
	v_exp_f32_e32 v5, v5                                       // 00000000495C: 7E0A4105
	v_exp_f32_e32 v6, v6                                       // 000000004960: 7E0C4106
	v_exp_f32_e32 v7, v7                                       // 000000004964: 7E0E4107
	v_add_f32_e64 v4, v4, 1.0                                  // 000000004968: D1010004 0001E504
	v_add_f32_e64 v5, v5, 1.0                                  // 000000004970: D1010005 0001E505
	v_add_f32_e64 v6, v6, 1.0                                  // 000000004978: D1010006 0001E506
	v_add_f32_e64 v7, v7, 1.0                                  // 000000004980: D1010007 0001E507
	v_rcp_f32_e32 v4, v4                                       // 000000004988: 7E084504
	v_rcp_f32_e32 v5, v5                                       // 00000000498C: 7E0A4505
	v_rcp_f32_e32 v6, v6                                       // 000000004990: 7E0C4506
	v_rcp_f32_e32 v7, v7                                       // 000000004994: 7E0E4507
	v_mul_f32_e32 v76, v76, v4                                 // 000000004998: 0A98094C
	v_mul_f32_e32 v77, v77, v5                                 // 00000000499C: 0A9A0B4D
	v_mul_f32_e32 v78, v78, v6                                 // 0000000049A0: 0A9C0D4E
	v_mul_f32_e32 v79, v79, v7                                 // 0000000049A4: 0A9E0F4F
	v_mul_f32_e32 v76, v76, v124                               // 0000000049A8: 0A98F94C
	v_mul_f32_e32 v77, v77, v125                               // 0000000049AC: 0A9AFB4D
	v_mul_f32_e32 v78, v78, v126                               // 0000000049B0: 0A9CFD4E
	v_mul_f32_e32 v79, v79, v127                               // 0000000049B4: 0A9EFF4F
	v_pk_mul_f32 v[4:5], v[80:81], v[80:81]                    // 0000000049B8: D3B14004 1802A150
	v_pk_mul_f32 v[6:7], v[82:83], v[82:83]                    // 0000000049C0: D3B14006 1802A552
	v_pk_fma_f32 v[4:5], v[4:5], s[78:79], v[8:9]              // 0000000049C8: D3B04004 1C209D04
	v_pk_fma_f32 v[6:7], v[6:7], s[78:79], v[8:9]              // 0000000049D0: D3B04006 1C209D06
	v_pk_mul_f32 v[4:5], v[4:5], v[80:81]                      // 0000000049D8: D3B14004 1802A104
	v_pk_mul_f32 v[6:7], v[6:7], v[82:83]                      // 0000000049E0: D3B14006 1802A506
	v_pk_mul_f32 v[4:5], v[4:5], s[60:61]                      // 0000000049E8: D3B14004 18007904
	v_pk_mul_f32 v[6:7], v[6:7], s[60:61]                      // 0000000049F0: D3B14006 18007906
	v_exp_f32_e32 v4, v4                                       // 0000000049F8: 7E084104
	v_exp_f32_e32 v5, v5                                       // 0000000049FC: 7E0A4105
	v_exp_f32_e32 v6, v6                                       // 000000004A00: 7E0C4106
	v_exp_f32_e32 v7, v7                                       // 000000004A04: 7E0E4107
	v_add_f32_e64 v4, v4, 1.0                                  // 000000004A08: D1010004 0001E504
	v_add_f32_e64 v5, v5, 1.0                                  // 000000004A10: D1010005 0001E505
	v_add_f32_e64 v6, v6, 1.0                                  // 000000004A18: D1010006 0001E506
	v_add_f32_e64 v7, v7, 1.0                                  // 000000004A20: D1010007 0001E507
	v_rcp_f32_e32 v4, v4                                       // 000000004A28: 7E084504
	v_rcp_f32_e32 v5, v5                                       // 000000004A2C: 7E0A4505
	v_rcp_f32_e32 v6, v6                                       // 000000004A30: 7E0C4506
	v_rcp_f32_e32 v7, v7                                       // 000000004A34: 7E0E4507
	v_mul_f32_e32 v80, v80, v4                                 // 000000004A38: 0AA00950
	v_mul_f32_e32 v81, v81, v5                                 // 000000004A3C: 0AA20B51
	v_mul_f32_e32 v82, v82, v6                                 // 000000004A40: 0AA40D52
	v_mul_f32_e32 v83, v83, v7                                 // 000000004A44: 0AA60F53
	v_mul_f32_e32 v80, v80, v128                               // 000000004A48: 0AA10150
	v_mul_f32_e32 v81, v81, v129                               // 000000004A4C: 0AA30351
	v_mul_f32_e32 v82, v82, v130                               // 000000004A50: 0AA50552
	v_mul_f32_e32 v83, v83, v131                               // 000000004A54: 0AA70753
	v_pk_mul_f32 v[4:5], v[84:85], v[84:85]                    // 000000004A58: D3B14004 1802A954
	v_pk_mul_f32 v[6:7], v[86:87], v[86:87]                    // 000000004A60: D3B14006 1802AD56
	v_pk_fma_f32 v[4:5], v[4:5], s[78:79], v[8:9]              // 000000004A68: D3B04004 1C209D04
	v_pk_fma_f32 v[6:7], v[6:7], s[78:79], v[8:9]              // 000000004A70: D3B04006 1C209D06
	v_pk_mul_f32 v[4:5], v[4:5], v[84:85]                      // 000000004A78: D3B14004 1802A904
	v_pk_mul_f32 v[6:7], v[6:7], v[86:87]                      // 000000004A80: D3B14006 1802AD06
	v_pk_mul_f32 v[4:5], v[4:5], s[60:61]                      // 000000004A88: D3B14004 18007904
	v_pk_mul_f32 v[6:7], v[6:7], s[60:61]                      // 000000004A90: D3B14006 18007906
	v_exp_f32_e32 v4, v4                                       // 000000004A98: 7E084104
	v_exp_f32_e32 v5, v5                                       // 000000004A9C: 7E0A4105
	v_exp_f32_e32 v6, v6                                       // 000000004AA0: 7E0C4106
	v_exp_f32_e32 v7, v7                                       // 000000004AA4: 7E0E4107
	v_add_f32_e64 v4, v4, 1.0                                  // 000000004AA8: D1010004 0001E504
	v_add_f32_e64 v5, v5, 1.0                                  // 000000004AB0: D1010005 0001E505
	v_add_f32_e64 v6, v6, 1.0                                  // 000000004AB8: D1010006 0001E506
	v_add_f32_e64 v7, v7, 1.0                                  // 000000004AC0: D1010007 0001E507
	v_rcp_f32_e32 v4, v4                                       // 000000004AC8: 7E084504
	v_rcp_f32_e32 v5, v5                                       // 000000004ACC: 7E0A4505
	v_rcp_f32_e32 v6, v6                                       // 000000004AD0: 7E0C4506
	v_rcp_f32_e32 v7, v7                                       // 000000004AD4: 7E0E4507
	v_mul_f32_e32 v84, v84, v4                                 // 000000004AD8: 0AA80954
	v_mul_f32_e32 v85, v85, v5                                 // 000000004ADC: 0AAA0B55
	v_mul_f32_e32 v86, v86, v6                                 // 000000004AE0: 0AAC0D56
	v_mul_f32_e32 v87, v87, v7                                 // 000000004AE4: 0AAE0F57
	v_mul_f32_e32 v84, v84, v132                               // 000000004AE8: 0AA90954
	v_mul_f32_e32 v85, v85, v133                               // 000000004AEC: 0AAB0B55
	v_mul_f32_e32 v86, v86, v134                               // 000000004AF0: 0AAD0D56
	v_mul_f32_e32 v87, v87, v135                               // 000000004AF4: 0AAF0F57
	v_pk_mul_f32 v[4:5], v[88:89], v[88:89]                    // 000000004AF8: D3B14004 1802B158
	v_pk_mul_f32 v[6:7], v[90:91], v[90:91]                    // 000000004B00: D3B14006 1802B55A
	v_pk_fma_f32 v[4:5], v[4:5], s[78:79], v[8:9]              // 000000004B08: D3B04004 1C209D04
	v_pk_fma_f32 v[6:7], v[6:7], s[78:79], v[8:9]              // 000000004B10: D3B04006 1C209D06
	v_pk_mul_f32 v[4:5], v[4:5], v[88:89]                      // 000000004B18: D3B14004 1802B104
	v_pk_mul_f32 v[6:7], v[6:7], v[90:91]                      // 000000004B20: D3B14006 1802B506
	v_pk_mul_f32 v[4:5], v[4:5], s[60:61]                      // 000000004B28: D3B14004 18007904
	v_pk_mul_f32 v[6:7], v[6:7], s[60:61]                      // 000000004B30: D3B14006 18007906
	v_exp_f32_e32 v4, v4                                       // 000000004B38: 7E084104
	v_exp_f32_e32 v5, v5                                       // 000000004B3C: 7E0A4105
	v_exp_f32_e32 v6, v6                                       // 000000004B40: 7E0C4106
	v_exp_f32_e32 v7, v7                                       // 000000004B44: 7E0E4107
	v_add_f32_e64 v4, v4, 1.0                                  // 000000004B48: D1010004 0001E504
	v_add_f32_e64 v5, v5, 1.0                                  // 000000004B50: D1010005 0001E505
	v_add_f32_e64 v6, v6, 1.0                                  // 000000004B58: D1010006 0001E506
	v_add_f32_e64 v7, v7, 1.0                                  // 000000004B60: D1010007 0001E507
	v_rcp_f32_e32 v4, v4                                       // 000000004B68: 7E084504
	v_rcp_f32_e32 v5, v5                                       // 000000004B6C: 7E0A4505
	v_rcp_f32_e32 v6, v6                                       // 000000004B70: 7E0C4506
	v_rcp_f32_e32 v7, v7                                       // 000000004B74: 7E0E4507
	v_mul_f32_e32 v88, v88, v4                                 // 000000004B78: 0AB00958
	v_mul_f32_e32 v89, v89, v5                                 // 000000004B7C: 0AB20B59
	v_mul_f32_e32 v90, v90, v6                                 // 000000004B80: 0AB40D5A
	v_mul_f32_e32 v91, v91, v7                                 // 000000004B84: 0AB60F5B
	v_mul_f32_e32 v88, v88, v136                               // 000000004B88: 0AB11158
	v_mul_f32_e32 v89, v89, v137                               // 000000004B8C: 0AB31359
	v_mul_f32_e32 v90, v90, v138                               // 000000004B90: 0AB5155A
	v_mul_f32_e32 v91, v91, v139                               // 000000004B94: 0AB7175B
	v_pk_mul_f32 v[4:5], v[92:93], v[92:93]                    // 000000004B98: D3B14004 1802B95C
	v_pk_mul_f32 v[6:7], v[94:95], v[94:95]                    // 000000004BA0: D3B14006 1802BD5E
	v_pk_fma_f32 v[4:5], v[4:5], s[78:79], v[8:9]              // 000000004BA8: D3B04004 1C209D04
	v_pk_fma_f32 v[6:7], v[6:7], s[78:79], v[8:9]              // 000000004BB0: D3B04006 1C209D06
	v_pk_mul_f32 v[4:5], v[4:5], v[92:93]                      // 000000004BB8: D3B14004 1802B904
	v_pk_mul_f32 v[6:7], v[6:7], v[94:95]                      // 000000004BC0: D3B14006 1802BD06
	v_pk_mul_f32 v[4:5], v[4:5], s[60:61]                      // 000000004BC8: D3B14004 18007904
	v_pk_mul_f32 v[6:7], v[6:7], s[60:61]                      // 000000004BD0: D3B14006 18007906
	v_exp_f32_e32 v4, v4                                       // 000000004BD8: 7E084104
	v_exp_f32_e32 v5, v5                                       // 000000004BDC: 7E0A4105
	v_exp_f32_e32 v6, v6                                       // 000000004BE0: 7E0C4106
	v_exp_f32_e32 v7, v7                                       // 000000004BE4: 7E0E4107
	v_add_f32_e64 v4, v4, 1.0                                  // 000000004BE8: D1010004 0001E504
	v_add_f32_e64 v5, v5, 1.0                                  // 000000004BF0: D1010005 0001E505
	v_add_f32_e64 v6, v6, 1.0                                  // 000000004BF8: D1010006 0001E506
	v_add_f32_e64 v7, v7, 1.0                                  // 000000004C00: D1010007 0001E507
	v_rcp_f32_e32 v4, v4                                       // 000000004C08: 7E084504
	v_rcp_f32_e32 v5, v5                                       // 000000004C0C: 7E0A4505
	v_rcp_f32_e32 v6, v6                                       // 000000004C10: 7E0C4506
	v_rcp_f32_e32 v7, v7                                       // 000000004C14: 7E0E4507
	v_mul_f32_e32 v92, v92, v4                                 // 000000004C18: 0AB8095C
	v_mul_f32_e32 v93, v93, v5                                 // 000000004C1C: 0ABA0B5D
	v_mul_f32_e32 v94, v94, v6                                 // 000000004C20: 0ABC0D5E
	v_mul_f32_e32 v95, v95, v7                                 // 000000004C24: 0ABE0F5F
	v_mul_f32_e32 v92, v92, v140                               // 000000004C28: 0AB9195C
	v_mul_f32_e32 v93, v93, v141                               // 000000004C2C: 0ABB1B5D
	v_mul_f32_e32 v94, v94, v142                               // 000000004C30: 0ABD1D5E
	v_mul_f32_e32 v95, v95, v143                               // 000000004C34: 0ABF1F5F
	v_pk_mul_f32 v[4:5], v[96:97], v[96:97]                    // 000000004C38: D3B14004 1802C160
	v_pk_mul_f32 v[6:7], v[98:99], v[98:99]                    // 000000004C40: D3B14006 1802C562
	v_pk_fma_f32 v[4:5], v[4:5], s[78:79], v[8:9]              // 000000004C48: D3B04004 1C209D04
	v_pk_fma_f32 v[6:7], v[6:7], s[78:79], v[8:9]              // 000000004C50: D3B04006 1C209D06
	v_pk_mul_f32 v[4:5], v[4:5], v[96:97]                      // 000000004C58: D3B14004 1802C104
	v_pk_mul_f32 v[6:7], v[6:7], v[98:99]                      // 000000004C60: D3B14006 1802C506
	v_pk_mul_f32 v[4:5], v[4:5], s[60:61]                      // 000000004C68: D3B14004 18007904
	v_pk_mul_f32 v[6:7], v[6:7], s[60:61]                      // 000000004C70: D3B14006 18007906
	v_exp_f32_e32 v4, v4                                       // 000000004C78: 7E084104
	v_exp_f32_e32 v5, v5                                       // 000000004C7C: 7E0A4105
	v_exp_f32_e32 v6, v6                                       // 000000004C80: 7E0C4106
	v_exp_f32_e32 v7, v7                                       // 000000004C84: 7E0E4107
	v_add_f32_e64 v4, v4, 1.0                                  // 000000004C88: D1010004 0001E504
	v_add_f32_e64 v5, v5, 1.0                                  // 000000004C90: D1010005 0001E505
	v_add_f32_e64 v6, v6, 1.0                                  // 000000004C98: D1010006 0001E506
	v_add_f32_e64 v7, v7, 1.0                                  // 000000004CA0: D1010007 0001E507
	v_rcp_f32_e32 v4, v4                                       // 000000004CA8: 7E084504
	v_rcp_f32_e32 v5, v5                                       // 000000004CAC: 7E0A4505
	v_rcp_f32_e32 v6, v6                                       // 000000004CB0: 7E0C4506
	v_rcp_f32_e32 v7, v7                                       // 000000004CB4: 7E0E4507
	v_mul_f32_e32 v96, v96, v4                                 // 000000004CB8: 0AC00960
	v_mul_f32_e32 v97, v97, v5                                 // 000000004CBC: 0AC20B61
	v_mul_f32_e32 v98, v98, v6                                 // 000000004CC0: 0AC40D62
	v_mul_f32_e32 v99, v99, v7                                 // 000000004CC4: 0AC60F63
	v_mul_f32_e32 v96, v96, v144                               // 000000004CC8: 0AC12160
	v_mul_f32_e32 v97, v97, v145                               // 000000004CCC: 0AC32361
	v_mul_f32_e32 v98, v98, v146                               // 000000004CD0: 0AC52562
	v_mul_f32_e32 v99, v99, v147                               // 000000004CD4: 0AC72763
	v_pk_mul_f32 v[4:5], v[100:101], v[100:101]                // 000000004CD8: D3B14004 1802C964
	v_pk_mul_f32 v[6:7], v[102:103], v[102:103]                // 000000004CE0: D3B14006 1802CD66
	v_pk_fma_f32 v[4:5], v[4:5], s[78:79], v[8:9]              // 000000004CE8: D3B04004 1C209D04
	v_pk_fma_f32 v[6:7], v[6:7], s[78:79], v[8:9]              // 000000004CF0: D3B04006 1C209D06
	v_pk_mul_f32 v[4:5], v[4:5], v[100:101]                    // 000000004CF8: D3B14004 1802C904
	v_pk_mul_f32 v[6:7], v[6:7], v[102:103]                    // 000000004D00: D3B14006 1802CD06
	v_pk_mul_f32 v[4:5], v[4:5], s[60:61]                      // 000000004D08: D3B14004 18007904
	v_pk_mul_f32 v[6:7], v[6:7], s[60:61]                      // 000000004D10: D3B14006 18007906
	v_exp_f32_e32 v4, v4                                       // 000000004D18: 7E084104
	v_exp_f32_e32 v5, v5                                       // 000000004D1C: 7E0A4105
	v_exp_f32_e32 v6, v6                                       // 000000004D20: 7E0C4106
	v_exp_f32_e32 v7, v7                                       // 000000004D24: 7E0E4107
	v_add_f32_e64 v4, v4, 1.0                                  // 000000004D28: D1010004 0001E504
	v_add_f32_e64 v5, v5, 1.0                                  // 000000004D30: D1010005 0001E505
	v_add_f32_e64 v6, v6, 1.0                                  // 000000004D38: D1010006 0001E506
	v_add_f32_e64 v7, v7, 1.0                                  // 000000004D40: D1010007 0001E507
	v_rcp_f32_e32 v4, v4                                       // 000000004D48: 7E084504
	v_rcp_f32_e32 v5, v5                                       // 000000004D4C: 7E0A4505
	v_rcp_f32_e32 v6, v6                                       // 000000004D50: 7E0C4506
	v_rcp_f32_e32 v7, v7                                       // 000000004D54: 7E0E4507
	v_mul_f32_e32 v100, v100, v4                               // 000000004D58: 0AC80964
	v_mul_f32_e32 v101, v101, v5                               // 000000004D5C: 0ACA0B65
	v_mul_f32_e32 v102, v102, v6                               // 000000004D60: 0ACC0D66
	v_mul_f32_e32 v103, v103, v7                               // 000000004D64: 0ACE0F67
	v_mul_f32_e32 v100, v100, v148                             // 000000004D68: 0AC92964
	v_mul_f32_e32 v101, v101, v149                             // 000000004D6C: 0ACB2B65
	v_mul_f32_e32 v102, v102, v150                             // 000000004D70: 0ACD2D66
	v_mul_f32_e32 v103, v103, v151                             // 000000004D74: 0ACF2F67
	v_pk_mul_f32 v[4:5], v[104:105], v[104:105]                // 000000004D78: D3B14004 1802D168
	v_pk_mul_f32 v[6:7], v[106:107], v[106:107]                // 000000004D80: D3B14006 1802D56A
	v_pk_fma_f32 v[4:5], v[4:5], s[78:79], v[8:9]              // 000000004D88: D3B04004 1C209D04
	v_pk_fma_f32 v[6:7], v[6:7], s[78:79], v[8:9]              // 000000004D90: D3B04006 1C209D06
	v_pk_mul_f32 v[4:5], v[4:5], v[104:105]                    // 000000004D98: D3B14004 1802D104
	v_pk_mul_f32 v[6:7], v[6:7], v[106:107]                    // 000000004DA0: D3B14006 1802D506
	v_pk_mul_f32 v[4:5], v[4:5], s[60:61]                      // 000000004DA8: D3B14004 18007904
	v_pk_mul_f32 v[6:7], v[6:7], s[60:61]                      // 000000004DB0: D3B14006 18007906
	v_exp_f32_e32 v4, v4                                       // 000000004DB8: 7E084104
	v_exp_f32_e32 v5, v5                                       // 000000004DBC: 7E0A4105
	v_exp_f32_e32 v6, v6                                       // 000000004DC0: 7E0C4106
	v_exp_f32_e32 v7, v7                                       // 000000004DC4: 7E0E4107
	v_add_f32_e64 v4, v4, 1.0                                  // 000000004DC8: D1010004 0001E504
	v_add_f32_e64 v5, v5, 1.0                                  // 000000004DD0: D1010005 0001E505
	v_add_f32_e64 v6, v6, 1.0                                  // 000000004DD8: D1010006 0001E506
	v_add_f32_e64 v7, v7, 1.0                                  // 000000004DE0: D1010007 0001E507
	v_rcp_f32_e32 v4, v4                                       // 000000004DE8: 7E084504
	v_rcp_f32_e32 v5, v5                                       // 000000004DEC: 7E0A4505
	v_rcp_f32_e32 v6, v6                                       // 000000004DF0: 7E0C4506
	v_rcp_f32_e32 v7, v7                                       // 000000004DF4: 7E0E4507
	v_mul_f32_e32 v104, v104, v4                               // 000000004DF8: 0AD00968
	v_mul_f32_e32 v105, v105, v5                               // 000000004DFC: 0AD20B69
	v_mul_f32_e32 v106, v106, v6                               // 000000004E00: 0AD40D6A
	v_mul_f32_e32 v107, v107, v7                               // 000000004E04: 0AD60F6B
	v_mul_f32_e32 v104, v104, v152                             // 000000004E08: 0AD13168
	v_mul_f32_e32 v105, v105, v153                             // 000000004E0C: 0AD33369
	v_mul_f32_e32 v106, v106, v154                             // 000000004E10: 0AD5356A
	v_mul_f32_e32 v107, v107, v155                             // 000000004E14: 0AD7376B
	v_pk_mul_f32 v[4:5], v[108:109], v[108:109]                // 000000004E18: D3B14004 1802D96C
	v_pk_mul_f32 v[6:7], v[110:111], v[110:111]                // 000000004E20: D3B14006 1802DD6E
	v_pk_fma_f32 v[4:5], v[4:5], s[78:79], v[8:9]              // 000000004E28: D3B04004 1C209D04
	v_pk_fma_f32 v[6:7], v[6:7], s[78:79], v[8:9]              // 000000004E30: D3B04006 1C209D06
	v_pk_mul_f32 v[4:5], v[4:5], v[108:109]                    // 000000004E38: D3B14004 1802D904
	v_pk_mul_f32 v[6:7], v[6:7], v[110:111]                    // 000000004E40: D3B14006 1802DD06
	v_pk_mul_f32 v[4:5], v[4:5], s[60:61]                      // 000000004E48: D3B14004 18007904
	v_pk_mul_f32 v[6:7], v[6:7], s[60:61]                      // 000000004E50: D3B14006 18007906
	v_exp_f32_e32 v4, v4                                       // 000000004E58: 7E084104
	v_exp_f32_e32 v5, v5                                       // 000000004E5C: 7E0A4105
	v_exp_f32_e32 v6, v6                                       // 000000004E60: 7E0C4106
	v_exp_f32_e32 v7, v7                                       // 000000004E64: 7E0E4107
	v_add_f32_e64 v4, v4, 1.0                                  // 000000004E68: D1010004 0001E504
	v_add_f32_e64 v5, v5, 1.0                                  // 000000004E70: D1010005 0001E505
	v_add_f32_e64 v6, v6, 1.0                                  // 000000004E78: D1010006 0001E506
	v_add_f32_e64 v7, v7, 1.0                                  // 000000004E80: D1010007 0001E507
	v_rcp_f32_e32 v4, v4                                       // 000000004E88: 7E084504
	v_rcp_f32_e32 v5, v5                                       // 000000004E8C: 7E0A4505
	v_rcp_f32_e32 v6, v6                                       // 000000004E90: 7E0C4506
	v_rcp_f32_e32 v7, v7                                       // 000000004E94: 7E0E4507
	v_mul_f32_e32 v108, v108, v4                               // 000000004E98: 0AD8096C
	v_mul_f32_e32 v109, v109, v5                               // 000000004E9C: 0ADA0B6D
	v_mul_f32_e32 v110, v110, v6                               // 000000004EA0: 0ADC0D6E
	v_mul_f32_e32 v111, v111, v7                               // 000000004EA4: 0ADE0F6F
	v_mul_f32_e32 v108, v108, v156                             // 000000004EA8: 0AD9396C
	v_mul_f32_e32 v109, v109, v157                             // 000000004EAC: 0ADB3B6D
	v_mul_f32_e32 v110, v110, v158                             // 000000004EB0: 0ADD3D6E
	v_mul_f32_e32 v111, v111, v159                             // 000000004EB4: 0ADF3F6F
	v_pk_mul_f32 v[4:5], v[112:113], v[112:113]                // 000000004EB8: D3B14004 1802E170
	v_pk_mul_f32 v[6:7], v[114:115], v[114:115]                // 000000004EC0: D3B14006 1802E572
	v_pk_fma_f32 v[4:5], v[4:5], s[78:79], v[8:9]              // 000000004EC8: D3B04004 1C209D04
	v_pk_fma_f32 v[6:7], v[6:7], s[78:79], v[8:9]              // 000000004ED0: D3B04006 1C209D06
	v_pk_mul_f32 v[4:5], v[4:5], v[112:113]                    // 000000004ED8: D3B14004 1802E104
	v_pk_mul_f32 v[6:7], v[6:7], v[114:115]                    // 000000004EE0: D3B14006 1802E506
	v_pk_mul_f32 v[4:5], v[4:5], s[60:61]                      // 000000004EE8: D3B14004 18007904
	v_pk_mul_f32 v[6:7], v[6:7], s[60:61]                      // 000000004EF0: D3B14006 18007906
	v_exp_f32_e32 v4, v4                                       // 000000004EF8: 7E084104
	v_exp_f32_e32 v5, v5                                       // 000000004EFC: 7E0A4105
	v_exp_f32_e32 v6, v6                                       // 000000004F00: 7E0C4106
	v_exp_f32_e32 v7, v7                                       // 000000004F04: 7E0E4107
	v_add_f32_e64 v4, v4, 1.0                                  // 000000004F08: D1010004 0001E504
	v_add_f32_e64 v5, v5, 1.0                                  // 000000004F10: D1010005 0001E505
	v_add_f32_e64 v6, v6, 1.0                                  // 000000004F18: D1010006 0001E506
	v_add_f32_e64 v7, v7, 1.0                                  // 000000004F20: D1010007 0001E507
	v_rcp_f32_e32 v4, v4                                       // 000000004F28: 7E084504
	v_rcp_f32_e32 v5, v5                                       // 000000004F2C: 7E0A4505
	v_rcp_f32_e32 v6, v6                                       // 000000004F30: 7E0C4506
	v_rcp_f32_e32 v7, v7                                       // 000000004F34: 7E0E4507
	v_mul_f32_e32 v112, v112, v4                               // 000000004F38: 0AE00970
	v_mul_f32_e32 v113, v113, v5                               // 000000004F3C: 0AE20B71
	v_mul_f32_e32 v114, v114, v6                               // 000000004F40: 0AE40D72
	v_mul_f32_e32 v115, v115, v7                               // 000000004F44: 0AE60F73
	v_mul_f32_e32 v112, v112, v160                             // 000000004F48: 0AE14170
	v_mul_f32_e32 v113, v113, v161                             // 000000004F4C: 0AE34371
	v_mul_f32_e32 v114, v114, v162                             // 000000004F50: 0AE54572
	v_mul_f32_e32 v115, v115, v163                             // 000000004F54: 0AE74773
	s_branch label_0AD7                                        // 000000004F58: BF820180

0000000000004f5c <label_0957>:
	v_mul_f32_e64 v4, -v68, s6                                 // 000000004F5C: D1050004 20000D44
	v_mul_f32_e64 v5, -v69, s6                                 // 000000004F64: D1050005 20000D45
	v_mul_f32_e64 v6, -v70, s6                                 // 000000004F6C: D1050006 20000D46
	v_mul_f32_e64 v7, -v71, s6                                 // 000000004F74: D1050007 20000D47
	v_exp_f32_e32 v4, v4                                       // 000000004F7C: 7E084104
	v_exp_f32_e32 v5, v5                                       // 000000004F80: 7E0A4105
	v_exp_f32_e32 v6, v6                                       // 000000004F84: 7E0C4106
	v_exp_f32_e32 v7, v7                                       // 000000004F88: 7E0E4107
	v_add_f32_e64 v4, v4, 1.0                                  // 000000004F8C: D1010004 0001E504
	v_add_f32_e64 v5, v5, 1.0                                  // 000000004F94: D1010005 0001E505
	v_add_f32_e64 v6, v6, 1.0                                  // 000000004F9C: D1010006 0001E506
	v_add_f32_e64 v7, v7, 1.0                                  // 000000004FA4: D1010007 0001E507
	v_rcp_f32_e32 v4, v4                                       // 000000004FAC: 7E084504
	v_rcp_f32_e32 v5, v5                                       // 000000004FB0: 7E0A4505
	v_rcp_f32_e32 v6, v6                                       // 000000004FB4: 7E0C4506
	v_rcp_f32_e32 v7, v7                                       // 000000004FB8: 7E0E4507
	v_mul_f32_e32 v68, v68, v4                                 // 000000004FBC: 0A880944
	v_mul_f32_e32 v69, v69, v5                                 // 000000004FC0: 0A8A0B45
	v_mul_f32_e32 v70, v70, v6                                 // 000000004FC4: 0A8C0D46
	v_mul_f32_e32 v71, v71, v7                                 // 000000004FC8: 0A8E0F47
	v_mul_f32_e32 v68, v68, v116                               // 000000004FCC: 0A88E944
	v_mul_f32_e32 v69, v69, v117                               // 000000004FD0: 0A8AEB45
	v_mul_f32_e32 v70, v70, v118                               // 000000004FD4: 0A8CED46
	v_mul_f32_e32 v71, v71, v119                               // 000000004FD8: 0A8EEF47
	v_mul_f32_e64 v4, -v72, s6                                 // 000000004FDC: D1050004 20000D48
	v_mul_f32_e64 v5, -v73, s6                                 // 000000004FE4: D1050005 20000D49
	v_mul_f32_e64 v6, -v74, s6                                 // 000000004FEC: D1050006 20000D4A
	v_mul_f32_e64 v7, -v75, s6                                 // 000000004FF4: D1050007 20000D4B
	v_exp_f32_e32 v4, v4                                       // 000000004FFC: 7E084104
	v_exp_f32_e32 v5, v5                                       // 000000005000: 7E0A4105
	v_exp_f32_e32 v6, v6                                       // 000000005004: 7E0C4106
	v_exp_f32_e32 v7, v7                                       // 000000005008: 7E0E4107
	v_add_f32_e64 v4, v4, 1.0                                  // 00000000500C: D1010004 0001E504
	v_add_f32_e64 v5, v5, 1.0                                  // 000000005014: D1010005 0001E505
	v_add_f32_e64 v6, v6, 1.0                                  // 00000000501C: D1010006 0001E506
	v_add_f32_e64 v7, v7, 1.0                                  // 000000005024: D1010007 0001E507
	v_rcp_f32_e32 v4, v4                                       // 00000000502C: 7E084504
	v_rcp_f32_e32 v5, v5                                       // 000000005030: 7E0A4505
	v_rcp_f32_e32 v6, v6                                       // 000000005034: 7E0C4506
	v_rcp_f32_e32 v7, v7                                       // 000000005038: 7E0E4507
	v_mul_f32_e32 v72, v72, v4                                 // 00000000503C: 0A900948
	v_mul_f32_e32 v73, v73, v5                                 // 000000005040: 0A920B49
	v_mul_f32_e32 v74, v74, v6                                 // 000000005044: 0A940D4A
	v_mul_f32_e32 v75, v75, v7                                 // 000000005048: 0A960F4B
	v_mul_f32_e32 v72, v72, v120                               // 00000000504C: 0A90F148
	v_mul_f32_e32 v73, v73, v121                               // 000000005050: 0A92F349
	v_mul_f32_e32 v74, v74, v122                               // 000000005054: 0A94F54A
	v_mul_f32_e32 v75, v75, v123                               // 000000005058: 0A96F74B
	v_mul_f32_e64 v4, -v76, s6                                 // 00000000505C: D1050004 20000D4C
	v_mul_f32_e64 v5, -v77, s6                                 // 000000005064: D1050005 20000D4D
	v_mul_f32_e64 v6, -v78, s6                                 // 00000000506C: D1050006 20000D4E
	v_mul_f32_e64 v7, -v79, s6                                 // 000000005074: D1050007 20000D4F
	v_exp_f32_e32 v4, v4                                       // 00000000507C: 7E084104
	v_exp_f32_e32 v5, v5                                       // 000000005080: 7E0A4105
	v_exp_f32_e32 v6, v6                                       // 000000005084: 7E0C4106
	v_exp_f32_e32 v7, v7                                       // 000000005088: 7E0E4107
	v_add_f32_e64 v4, v4, 1.0                                  // 00000000508C: D1010004 0001E504
	v_add_f32_e64 v5, v5, 1.0                                  // 000000005094: D1010005 0001E505
	v_add_f32_e64 v6, v6, 1.0                                  // 00000000509C: D1010006 0001E506
	v_add_f32_e64 v7, v7, 1.0                                  // 0000000050A4: D1010007 0001E507
	v_rcp_f32_e32 v4, v4                                       // 0000000050AC: 7E084504
	v_rcp_f32_e32 v5, v5                                       // 0000000050B0: 7E0A4505
	v_rcp_f32_e32 v6, v6                                       // 0000000050B4: 7E0C4506
	v_rcp_f32_e32 v7, v7                                       // 0000000050B8: 7E0E4507
	v_mul_f32_e32 v76, v76, v4                                 // 0000000050BC: 0A98094C
	v_mul_f32_e32 v77, v77, v5                                 // 0000000050C0: 0A9A0B4D
	v_mul_f32_e32 v78, v78, v6                                 // 0000000050C4: 0A9C0D4E
	v_mul_f32_e32 v79, v79, v7                                 // 0000000050C8: 0A9E0F4F
	v_mul_f32_e32 v76, v76, v124                               // 0000000050CC: 0A98F94C
	v_mul_f32_e32 v77, v77, v125                               // 0000000050D0: 0A9AFB4D
	v_mul_f32_e32 v78, v78, v126                               // 0000000050D4: 0A9CFD4E
	v_mul_f32_e32 v79, v79, v127                               // 0000000050D8: 0A9EFF4F
	v_mul_f32_e64 v4, -v80, s6                                 // 0000000050DC: D1050004 20000D50
	v_mul_f32_e64 v5, -v81, s6                                 // 0000000050E4: D1050005 20000D51
	v_mul_f32_e64 v6, -v82, s6                                 // 0000000050EC: D1050006 20000D52
	v_mul_f32_e64 v7, -v83, s6                                 // 0000000050F4: D1050007 20000D53
	v_exp_f32_e32 v4, v4                                       // 0000000050FC: 7E084104
	v_exp_f32_e32 v5, v5                                       // 000000005100: 7E0A4105
	v_exp_f32_e32 v6, v6                                       // 000000005104: 7E0C4106
	v_exp_f32_e32 v7, v7                                       // 000000005108: 7E0E4107
	v_add_f32_e64 v4, v4, 1.0                                  // 00000000510C: D1010004 0001E504
	v_add_f32_e64 v5, v5, 1.0                                  // 000000005114: D1010005 0001E505
	v_add_f32_e64 v6, v6, 1.0                                  // 00000000511C: D1010006 0001E506
	v_add_f32_e64 v7, v7, 1.0                                  // 000000005124: D1010007 0001E507
	v_rcp_f32_e32 v4, v4                                       // 00000000512C: 7E084504
	v_rcp_f32_e32 v5, v5                                       // 000000005130: 7E0A4505
	v_rcp_f32_e32 v6, v6                                       // 000000005134: 7E0C4506
	v_rcp_f32_e32 v7, v7                                       // 000000005138: 7E0E4507
	v_mul_f32_e32 v80, v80, v4                                 // 00000000513C: 0AA00950
	v_mul_f32_e32 v81, v81, v5                                 // 000000005140: 0AA20B51
	v_mul_f32_e32 v82, v82, v6                                 // 000000005144: 0AA40D52
	v_mul_f32_e32 v83, v83, v7                                 // 000000005148: 0AA60F53
	v_mul_f32_e32 v80, v80, v128                               // 00000000514C: 0AA10150
	v_mul_f32_e32 v81, v81, v129                               // 000000005150: 0AA30351
	v_mul_f32_e32 v82, v82, v130                               // 000000005154: 0AA50552
	v_mul_f32_e32 v83, v83, v131                               // 000000005158: 0AA70753
	v_mul_f32_e64 v4, -v84, s6                                 // 00000000515C: D1050004 20000D54
	v_mul_f32_e64 v5, -v85, s6                                 // 000000005164: D1050005 20000D55
	v_mul_f32_e64 v6, -v86, s6                                 // 00000000516C: D1050006 20000D56
	v_mul_f32_e64 v7, -v87, s6                                 // 000000005174: D1050007 20000D57
	v_exp_f32_e32 v4, v4                                       // 00000000517C: 7E084104
	v_exp_f32_e32 v5, v5                                       // 000000005180: 7E0A4105
	v_exp_f32_e32 v6, v6                                       // 000000005184: 7E0C4106
	v_exp_f32_e32 v7, v7                                       // 000000005188: 7E0E4107
	v_add_f32_e64 v4, v4, 1.0                                  // 00000000518C: D1010004 0001E504
	v_add_f32_e64 v5, v5, 1.0                                  // 000000005194: D1010005 0001E505
	v_add_f32_e64 v6, v6, 1.0                                  // 00000000519C: D1010006 0001E506
	v_add_f32_e64 v7, v7, 1.0                                  // 0000000051A4: D1010007 0001E507
	v_rcp_f32_e32 v4, v4                                       // 0000000051AC: 7E084504
	v_rcp_f32_e32 v5, v5                                       // 0000000051B0: 7E0A4505
	v_rcp_f32_e32 v6, v6                                       // 0000000051B4: 7E0C4506
	v_rcp_f32_e32 v7, v7                                       // 0000000051B8: 7E0E4507
	v_mul_f32_e32 v84, v84, v4                                 // 0000000051BC: 0AA80954
	v_mul_f32_e32 v85, v85, v5                                 // 0000000051C0: 0AAA0B55
	v_mul_f32_e32 v86, v86, v6                                 // 0000000051C4: 0AAC0D56
	v_mul_f32_e32 v87, v87, v7                                 // 0000000051C8: 0AAE0F57
	v_mul_f32_e32 v84, v84, v132                               // 0000000051CC: 0AA90954
	v_mul_f32_e32 v85, v85, v133                               // 0000000051D0: 0AAB0B55
	v_mul_f32_e32 v86, v86, v134                               // 0000000051D4: 0AAD0D56
	v_mul_f32_e32 v87, v87, v135                               // 0000000051D8: 0AAF0F57
	v_mul_f32_e64 v4, -v88, s6                                 // 0000000051DC: D1050004 20000D58
	v_mul_f32_e64 v5, -v89, s6                                 // 0000000051E4: D1050005 20000D59
	v_mul_f32_e64 v6, -v90, s6                                 // 0000000051EC: D1050006 20000D5A
	v_mul_f32_e64 v7, -v91, s6                                 // 0000000051F4: D1050007 20000D5B
	v_exp_f32_e32 v4, v4                                       // 0000000051FC: 7E084104
	v_exp_f32_e32 v5, v5                                       // 000000005200: 7E0A4105
	v_exp_f32_e32 v6, v6                                       // 000000005204: 7E0C4106
	v_exp_f32_e32 v7, v7                                       // 000000005208: 7E0E4107
	v_add_f32_e64 v4, v4, 1.0                                  // 00000000520C: D1010004 0001E504
	v_add_f32_e64 v5, v5, 1.0                                  // 000000005214: D1010005 0001E505
	v_add_f32_e64 v6, v6, 1.0                                  // 00000000521C: D1010006 0001E506
	v_add_f32_e64 v7, v7, 1.0                                  // 000000005224: D1010007 0001E507
	v_rcp_f32_e32 v4, v4                                       // 00000000522C: 7E084504
	v_rcp_f32_e32 v5, v5                                       // 000000005230: 7E0A4505
	v_rcp_f32_e32 v6, v6                                       // 000000005234: 7E0C4506
	v_rcp_f32_e32 v7, v7                                       // 000000005238: 7E0E4507
	v_mul_f32_e32 v88, v88, v4                                 // 00000000523C: 0AB00958
	v_mul_f32_e32 v89, v89, v5                                 // 000000005240: 0AB20B59
	v_mul_f32_e32 v90, v90, v6                                 // 000000005244: 0AB40D5A
	v_mul_f32_e32 v91, v91, v7                                 // 000000005248: 0AB60F5B
	v_mul_f32_e32 v88, v88, v136                               // 00000000524C: 0AB11158
	v_mul_f32_e32 v89, v89, v137                               // 000000005250: 0AB31359
	v_mul_f32_e32 v90, v90, v138                               // 000000005254: 0AB5155A
	v_mul_f32_e32 v91, v91, v139                               // 000000005258: 0AB7175B
	v_mul_f32_e64 v4, -v92, s6                                 // 00000000525C: D1050004 20000D5C
	v_mul_f32_e64 v5, -v93, s6                                 // 000000005264: D1050005 20000D5D
	v_mul_f32_e64 v6, -v94, s6                                 // 00000000526C: D1050006 20000D5E
	v_mul_f32_e64 v7, -v95, s6                                 // 000000005274: D1050007 20000D5F
	v_exp_f32_e32 v4, v4                                       // 00000000527C: 7E084104
	v_exp_f32_e32 v5, v5                                       // 000000005280: 7E0A4105
	v_exp_f32_e32 v6, v6                                       // 000000005284: 7E0C4106
	v_exp_f32_e32 v7, v7                                       // 000000005288: 7E0E4107
	v_add_f32_e64 v4, v4, 1.0                                  // 00000000528C: D1010004 0001E504
	v_add_f32_e64 v5, v5, 1.0                                  // 000000005294: D1010005 0001E505
	v_add_f32_e64 v6, v6, 1.0                                  // 00000000529C: D1010006 0001E506
	v_add_f32_e64 v7, v7, 1.0                                  // 0000000052A4: D1010007 0001E507
	v_rcp_f32_e32 v4, v4                                       // 0000000052AC: 7E084504
	v_rcp_f32_e32 v5, v5                                       // 0000000052B0: 7E0A4505
	v_rcp_f32_e32 v6, v6                                       // 0000000052B4: 7E0C4506
	v_rcp_f32_e32 v7, v7                                       // 0000000052B8: 7E0E4507
	v_mul_f32_e32 v92, v92, v4                                 // 0000000052BC: 0AB8095C
	v_mul_f32_e32 v93, v93, v5                                 // 0000000052C0: 0ABA0B5D
	v_mul_f32_e32 v94, v94, v6                                 // 0000000052C4: 0ABC0D5E
	v_mul_f32_e32 v95, v95, v7                                 // 0000000052C8: 0ABE0F5F
	v_mul_f32_e32 v92, v92, v140                               // 0000000052CC: 0AB9195C
	v_mul_f32_e32 v93, v93, v141                               // 0000000052D0: 0ABB1B5D
	v_mul_f32_e32 v94, v94, v142                               // 0000000052D4: 0ABD1D5E
	v_mul_f32_e32 v95, v95, v143                               // 0000000052D8: 0ABF1F5F
	v_mul_f32_e64 v4, -v96, s6                                 // 0000000052DC: D1050004 20000D60
	v_mul_f32_e64 v5, -v97, s6                                 // 0000000052E4: D1050005 20000D61
	v_mul_f32_e64 v6, -v98, s6                                 // 0000000052EC: D1050006 20000D62
	v_mul_f32_e64 v7, -v99, s6                                 // 0000000052F4: D1050007 20000D63
	v_exp_f32_e32 v4, v4                                       // 0000000052FC: 7E084104
	v_exp_f32_e32 v5, v5                                       // 000000005300: 7E0A4105
	v_exp_f32_e32 v6, v6                                       // 000000005304: 7E0C4106
	v_exp_f32_e32 v7, v7                                       // 000000005308: 7E0E4107
	v_add_f32_e64 v4, v4, 1.0                                  // 00000000530C: D1010004 0001E504
	v_add_f32_e64 v5, v5, 1.0                                  // 000000005314: D1010005 0001E505
	v_add_f32_e64 v6, v6, 1.0                                  // 00000000531C: D1010006 0001E506
	v_add_f32_e64 v7, v7, 1.0                                  // 000000005324: D1010007 0001E507
	v_rcp_f32_e32 v4, v4                                       // 00000000532C: 7E084504
	v_rcp_f32_e32 v5, v5                                       // 000000005330: 7E0A4505
	v_rcp_f32_e32 v6, v6                                       // 000000005334: 7E0C4506
	v_rcp_f32_e32 v7, v7                                       // 000000005338: 7E0E4507
	v_mul_f32_e32 v96, v96, v4                                 // 00000000533C: 0AC00960
	v_mul_f32_e32 v97, v97, v5                                 // 000000005340: 0AC20B61
	v_mul_f32_e32 v98, v98, v6                                 // 000000005344: 0AC40D62
	v_mul_f32_e32 v99, v99, v7                                 // 000000005348: 0AC60F63
	v_mul_f32_e32 v96, v96, v144                               // 00000000534C: 0AC12160
	v_mul_f32_e32 v97, v97, v145                               // 000000005350: 0AC32361
	v_mul_f32_e32 v98, v98, v146                               // 000000005354: 0AC52562
	v_mul_f32_e32 v99, v99, v147                               // 000000005358: 0AC72763
	v_mul_f32_e64 v4, -v100, s6                                // 00000000535C: D1050004 20000D64
	v_mul_f32_e64 v5, -v101, s6                                // 000000005364: D1050005 20000D65
	v_mul_f32_e64 v6, -v102, s6                                // 00000000536C: D1050006 20000D66
	v_mul_f32_e64 v7, -v103, s6                                // 000000005374: D1050007 20000D67
	v_exp_f32_e32 v4, v4                                       // 00000000537C: 7E084104
	v_exp_f32_e32 v5, v5                                       // 000000005380: 7E0A4105
	v_exp_f32_e32 v6, v6                                       // 000000005384: 7E0C4106
	v_exp_f32_e32 v7, v7                                       // 000000005388: 7E0E4107
	v_add_f32_e64 v4, v4, 1.0                                  // 00000000538C: D1010004 0001E504
	v_add_f32_e64 v5, v5, 1.0                                  // 000000005394: D1010005 0001E505
	v_add_f32_e64 v6, v6, 1.0                                  // 00000000539C: D1010006 0001E506
	v_add_f32_e64 v7, v7, 1.0                                  // 0000000053A4: D1010007 0001E507
	v_rcp_f32_e32 v4, v4                                       // 0000000053AC: 7E084504
	v_rcp_f32_e32 v5, v5                                       // 0000000053B0: 7E0A4505
	v_rcp_f32_e32 v6, v6                                       // 0000000053B4: 7E0C4506
	v_rcp_f32_e32 v7, v7                                       // 0000000053B8: 7E0E4507
	v_mul_f32_e32 v100, v100, v4                               // 0000000053BC: 0AC80964
	v_mul_f32_e32 v101, v101, v5                               // 0000000053C0: 0ACA0B65
	v_mul_f32_e32 v102, v102, v6                               // 0000000053C4: 0ACC0D66
	v_mul_f32_e32 v103, v103, v7                               // 0000000053C8: 0ACE0F67
	v_mul_f32_e32 v100, v100, v148                             // 0000000053CC: 0AC92964
	v_mul_f32_e32 v101, v101, v149                             // 0000000053D0: 0ACB2B65
	v_mul_f32_e32 v102, v102, v150                             // 0000000053D4: 0ACD2D66
	v_mul_f32_e32 v103, v103, v151                             // 0000000053D8: 0ACF2F67
	v_mul_f32_e64 v4, -v104, s6                                // 0000000053DC: D1050004 20000D68
	v_mul_f32_e64 v5, -v105, s6                                // 0000000053E4: D1050005 20000D69
	v_mul_f32_e64 v6, -v106, s6                                // 0000000053EC: D1050006 20000D6A
	v_mul_f32_e64 v7, -v107, s6                                // 0000000053F4: D1050007 20000D6B
	v_exp_f32_e32 v4, v4                                       // 0000000053FC: 7E084104
	v_exp_f32_e32 v5, v5                                       // 000000005400: 7E0A4105
	v_exp_f32_e32 v6, v6                                       // 000000005404: 7E0C4106
	v_exp_f32_e32 v7, v7                                       // 000000005408: 7E0E4107
	v_add_f32_e64 v4, v4, 1.0                                  // 00000000540C: D1010004 0001E504
	v_add_f32_e64 v5, v5, 1.0                                  // 000000005414: D1010005 0001E505
	v_add_f32_e64 v6, v6, 1.0                                  // 00000000541C: D1010006 0001E506
	v_add_f32_e64 v7, v7, 1.0                                  // 000000005424: D1010007 0001E507
	v_rcp_f32_e32 v4, v4                                       // 00000000542C: 7E084504
	v_rcp_f32_e32 v5, v5                                       // 000000005430: 7E0A4505
	v_rcp_f32_e32 v6, v6                                       // 000000005434: 7E0C4506
	v_rcp_f32_e32 v7, v7                                       // 000000005438: 7E0E4507
	v_mul_f32_e32 v104, v104, v4                               // 00000000543C: 0AD00968
	v_mul_f32_e32 v105, v105, v5                               // 000000005440: 0AD20B69
	v_mul_f32_e32 v106, v106, v6                               // 000000005444: 0AD40D6A
	v_mul_f32_e32 v107, v107, v7                               // 000000005448: 0AD60F6B
	v_mul_f32_e32 v104, v104, v152                             // 00000000544C: 0AD13168
	v_mul_f32_e32 v105, v105, v153                             // 000000005450: 0AD33369
	v_mul_f32_e32 v106, v106, v154                             // 000000005454: 0AD5356A
	v_mul_f32_e32 v107, v107, v155                             // 000000005458: 0AD7376B
	v_mul_f32_e64 v4, -v108, s6                                // 00000000545C: D1050004 20000D6C
	v_mul_f32_e64 v5, -v109, s6                                // 000000005464: D1050005 20000D6D
	v_mul_f32_e64 v6, -v110, s6                                // 00000000546C: D1050006 20000D6E
	v_mul_f32_e64 v7, -v111, s6                                // 000000005474: D1050007 20000D6F
	v_exp_f32_e32 v4, v4                                       // 00000000547C: 7E084104
	v_exp_f32_e32 v5, v5                                       // 000000005480: 7E0A4105
	v_exp_f32_e32 v6, v6                                       // 000000005484: 7E0C4106
	v_exp_f32_e32 v7, v7                                       // 000000005488: 7E0E4107
	v_add_f32_e64 v4, v4, 1.0                                  // 00000000548C: D1010004 0001E504
	v_add_f32_e64 v5, v5, 1.0                                  // 000000005494: D1010005 0001E505
	v_add_f32_e64 v6, v6, 1.0                                  // 00000000549C: D1010006 0001E506
	v_add_f32_e64 v7, v7, 1.0                                  // 0000000054A4: D1010007 0001E507
	v_rcp_f32_e32 v4, v4                                       // 0000000054AC: 7E084504
	v_rcp_f32_e32 v5, v5                                       // 0000000054B0: 7E0A4505
	v_rcp_f32_e32 v6, v6                                       // 0000000054B4: 7E0C4506
	v_rcp_f32_e32 v7, v7                                       // 0000000054B8: 7E0E4507
	v_mul_f32_e32 v108, v108, v4                               // 0000000054BC: 0AD8096C
	v_mul_f32_e32 v109, v109, v5                               // 0000000054C0: 0ADA0B6D
	v_mul_f32_e32 v110, v110, v6                               // 0000000054C4: 0ADC0D6E
	v_mul_f32_e32 v111, v111, v7                               // 0000000054C8: 0ADE0F6F
	v_mul_f32_e32 v108, v108, v156                             // 0000000054CC: 0AD9396C
	v_mul_f32_e32 v109, v109, v157                             // 0000000054D0: 0ADB3B6D
	v_mul_f32_e32 v110, v110, v158                             // 0000000054D4: 0ADD3D6E
	v_mul_f32_e32 v111, v111, v159                             // 0000000054D8: 0ADF3F6F
	v_mul_f32_e64 v4, -v112, s6                                // 0000000054DC: D1050004 20000D70
	v_mul_f32_e64 v5, -v113, s6                                // 0000000054E4: D1050005 20000D71
	v_mul_f32_e64 v6, -v114, s6                                // 0000000054EC: D1050006 20000D72
	v_mul_f32_e64 v7, -v115, s6                                // 0000000054F4: D1050007 20000D73
	v_exp_f32_e32 v4, v4                                       // 0000000054FC: 7E084104
	v_exp_f32_e32 v5, v5                                       // 000000005500: 7E0A4105
	v_exp_f32_e32 v6, v6                                       // 000000005504: 7E0C4106
	v_exp_f32_e32 v7, v7                                       // 000000005508: 7E0E4107
	v_add_f32_e64 v4, v4, 1.0                                  // 00000000550C: D1010004 0001E504
	v_add_f32_e64 v5, v5, 1.0                                  // 000000005514: D1010005 0001E505
	v_add_f32_e64 v6, v6, 1.0                                  // 00000000551C: D1010006 0001E506
	v_add_f32_e64 v7, v7, 1.0                                  // 000000005524: D1010007 0001E507
	v_rcp_f32_e32 v4, v4                                       // 00000000552C: 7E084504
	v_rcp_f32_e32 v5, v5                                       // 000000005530: 7E0A4505
	v_rcp_f32_e32 v6, v6                                       // 000000005534: 7E0C4506
	v_rcp_f32_e32 v7, v7                                       // 000000005538: 7E0E4507
	v_mul_f32_e32 v112, v112, v4                               // 00000000553C: 0AE00970
	v_mul_f32_e32 v113, v113, v5                               // 000000005540: 0AE20B71
	v_mul_f32_e32 v114, v114, v6                               // 000000005544: 0AE40D72
	v_mul_f32_e32 v115, v115, v7                               // 000000005548: 0AE60F73
	v_mul_f32_e32 v112, v112, v160                             // 00000000554C: 0AE14170
	v_mul_f32_e32 v113, v113, v161                             // 000000005550: 0AE34371
	v_mul_f32_e32 v114, v114, v162                             // 000000005554: 0AE54572
	v_mul_f32_e32 v115, v115, v163                             // 000000005558: 0AE74773

000000000000555c <label_0AD7>:
	s_cmp_eq_u32 s7, 0                                         // 00000000555C: BF068007
	s_cbranch_scc0 label_0AED                                  // 000000005560: BF840014
	v_and_b32_e32 v4, 15, v0                                   // 000000005564: 2608008F
	v_lshlrev_b32_e32 v4, 2, v4                                // 000000005568: 24080882
	buffer_load_dword v28, v4, s[12:15], 0 offen               // 00000000556C: E0501000 80031C04
	v_add_u32_e32 v4, 64, v4                                   // 000000005574: 680808C0
	buffer_load_dword v29, v4, s[12:15], 0 offen               // 000000005578: E0501000 80031D04
	v_add_u32_e32 v4, 64, v4                                   // 000000005580: 680808C0
	buffer_load_dword v30, v4, s[12:15], 0 offen               // 000000005584: E0501000 80031E04
	v_add_u32_e32 v4, 64, v4                                   // 00000000558C: 680808C0
	buffer_load_dword v31, v4, s[12:15], 0 offen               // 000000005590: E0501000 80031F04
	v_add_u32_e32 v4, 64, v4                                   // 000000005598: 680808C0
	buffer_load_dword v32, v4, s[12:15], 0 offen               // 00000000559C: E0501000 80032004
	v_add_u32_e32 v4, 64, v4                                   // 0000000055A4: 680808C0
	buffer_load_dword v33, v4, s[12:15], 0 offen               // 0000000055A8: E0501000 80032104
	v_add_u32_e32 v4, 64, v4                                   // 0000000055B0: 680808C0

00000000000055b4 <label_0AED>:
	v_lshlrev_b32_e32 v4, 2, v0                                // 0000000055B4: 24080082
	s_mul_i32 s60, 0x100, s7                                   // 0000000055B8: 923C07FF 00000100
	v_add_u32_e32 v122, s60, v4                                // 0000000055C0: 68F4083C
	v_and_b32_e32 v4, 15, v0                                   // 0000000055C4: 2608008F
	v_lshlrev_b32_e32 v123, 2, v4                              // 0000000055C8: 24F60882
	s_waitcnt lgkmcnt(0)                                       // 0000000055CC: BF8CC07F
	s_barrier                                                  // 0000000055D0: BF8A0000
	v_mov_b32_e32 v116, 0x358637bd                             // 0000000055D4: 7EE802FF 358637BD
	v_max3_f32 v116, |v68|, |v69|, v116                        // 0000000055DC: D1D30374 05D28B44
	v_max3_f32 v116, |v70|, |v71|, v116                        // 0000000055E4: D1D30374 05D28F46
	v_max3_f32 v116, |v92|, |v93|, v116                        // 0000000055EC: D1D30374 05D2BB5C
	v_max3_f32 v116, |v94|, |v95|, v116                        // 0000000055F4: D1D30374 05D2BF5E
	ds_write_b32 v122, v116                                    // 0000000055FC: D81A0000 0000747A
	s_waitcnt lgkmcnt(0)                                       // 000000005604: BF8CC07F
	s_barrier                                                  // 000000005608: BF8A0000
	ds_read_b32 v4, v123                                       // 00000000560C: D86C0000 0400007B
	ds_read_b32 v5, v123 offset:64                             // 000000005614: D86C0040 0500007B
	ds_read_b32 v6, v123 offset:128                            // 00000000561C: D86C0080 0600007B
	ds_read_b32 v7, v123 offset:192                            // 000000005624: D86C00C0 0700007B
	ds_read_b32 v8, v123 offset:256                            // 00000000562C: D86C0100 0800007B
	ds_read_b32 v9, v123 offset:320                            // 000000005634: D86C0140 0900007B
	ds_read_b32 v10, v123 offset:384                           // 00000000563C: D86C0180 0A00007B
	ds_read_b32 v11, v123 offset:448                           // 000000005644: D86C01C0 0B00007B
	ds_read_b32 v12, v123 offset:512                           // 00000000564C: D86C0200 0C00007B
	ds_read_b32 v13, v123 offset:576                           // 000000005654: D86C0240 0D00007B
	ds_read_b32 v14, v123 offset:640                           // 00000000565C: D86C0280 0E00007B
	ds_read_b32 v15, v123 offset:704                           // 000000005664: D86C02C0 0F00007B
	ds_read_b32 v16, v123 offset:768                           // 00000000566C: D86C0300 1000007B
	ds_read_b32 v17, v123 offset:832                           // 000000005674: D86C0340 1100007B
	ds_read_b32 v18, v123 offset:896                           // 00000000567C: D86C0380 1200007B
	ds_read_b32 v19, v123 offset:960                           // 000000005684: D86C03C0 1300007B
	s_waitcnt lgkmcnt(0)                                       // 00000000568C: BF8CC07F
	s_barrier                                                  // 000000005690: BF8A0000
	v_max3_f32 v116, |v4|, |v5|, v116                          // 000000005694: D1D30374 05D20B04
	v_max3_f32 v116, |v6|, |v7|, v116                          // 00000000569C: D1D30374 05D20F06
	v_max3_f32 v116, |v8|, |v9|, v116                          // 0000000056A4: D1D30374 05D21308
	v_max3_f32 v116, |v10|, |v11|, v116                        // 0000000056AC: D1D30374 05D2170A
	v_max3_f32 v116, |v12|, |v13|, v116                        // 0000000056B4: D1D30374 05D21B0C
	v_max3_f32 v116, |v14|, |v15|, v116                        // 0000000056BC: D1D30374 05D21F0E
	v_max3_f32 v116, |v16|, |v17|, v116                        // 0000000056C4: D1D30374 05D22310
	v_max3_f32 v116, |v18|, |v19|, v116                        // 0000000056CC: D1D30374 05D22712
	v_rcp_f32_e32 v116, v116                                   // 0000000056D4: 7EE84574
	v_mov_b32_e32 v4, 0x43700000                               // 0000000056D8: 7E0802FF 43700000
	v_mul_f32_e32 v116, v4, v116                               // 0000000056E0: 0AE8E904
	v_mov_b32_e32 v4, v116                                     // 0000000056E4: 7E080374
	v_mov_b32_e32 v5, v4                                       // 0000000056E8: 7E0A0304
	v_pk_mul_f32 v[68:69], v[4:5], v[68:69]                    // 0000000056EC: D3B14044 18028904
	v_pk_mul_f32 v[70:71], v[4:5], v[70:71]                    // 0000000056F4: D3B14046 18028D04
	v_cvt_pk_fp8_f32 v68, v68, v69                             // 0000000056FC: D2A20044 00028B44
	v_cvt_pk_fp8_f32 v68, v70, v71 op_sel:[0,0,1]              // 000000005704: D2A24044 00028F46
	v_pk_mul_f32 v[92:93], v[4:5], v[92:93]                    // 00000000570C: D3B1405C 1802B904
	v_pk_mul_f32 v[94:95], v[4:5], v[94:95]                    // 000000005714: D3B1405E 1802BD04
	v_cvt_pk_fp8_f32 v92, v92, v93                             // 00000000571C: D2A2005C 0002BB5C
	v_cvt_pk_fp8_f32 v92, v94, v95 op_sel:[0,0,1]              // 000000005724: D2A2405C 0002BF5E
	v_rcp_f32_e32 v116, v116                                   // 00000000572C: 7EE84574
	v_mov_b32_e32 v117, 0x358637bd                             // 000000005730: 7EEA02FF 358637BD
	v_max3_f32 v117, |v72|, |v73|, v117                        // 000000005738: D1D30375 05D69348
	v_max3_f32 v117, |v74|, |v75|, v117                        // 000000005740: D1D30375 05D6974A
	v_max3_f32 v117, |v96|, |v97|, v117                        // 000000005748: D1D30375 05D6C360
	v_max3_f32 v117, |v98|, |v99|, v117                        // 000000005750: D1D30375 05D6C762
	ds_write_b32 v122, v117                                    // 000000005758: D81A0000 0000757A
	s_waitcnt lgkmcnt(0)                                       // 000000005760: BF8CC07F
	s_barrier                                                  // 000000005764: BF8A0000
	ds_read_b32 v4, v123                                       // 000000005768: D86C0000 0400007B
	ds_read_b32 v5, v123 offset:64                             // 000000005770: D86C0040 0500007B
	ds_read_b32 v6, v123 offset:128                            // 000000005778: D86C0080 0600007B
	ds_read_b32 v7, v123 offset:192                            // 000000005780: D86C00C0 0700007B
	ds_read_b32 v8, v123 offset:256                            // 000000005788: D86C0100 0800007B
	ds_read_b32 v9, v123 offset:320                            // 000000005790: D86C0140 0900007B
	ds_read_b32 v10, v123 offset:384                           // 000000005798: D86C0180 0A00007B
	ds_read_b32 v11, v123 offset:448                           // 0000000057A0: D86C01C0 0B00007B
	ds_read_b32 v12, v123 offset:512                           // 0000000057A8: D86C0200 0C00007B
	ds_read_b32 v13, v123 offset:576                           // 0000000057B0: D86C0240 0D00007B
	ds_read_b32 v14, v123 offset:640                           // 0000000057B8: D86C0280 0E00007B
	ds_read_b32 v15, v123 offset:704                           // 0000000057C0: D86C02C0 0F00007B
	ds_read_b32 v16, v123 offset:768                           // 0000000057C8: D86C0300 1000007B
	ds_read_b32 v17, v123 offset:832                           // 0000000057D0: D86C0340 1100007B
	ds_read_b32 v18, v123 offset:896                           // 0000000057D8: D86C0380 1200007B
	ds_read_b32 v19, v123 offset:960                           // 0000000057E0: D86C03C0 1300007B
	s_waitcnt lgkmcnt(0)                                       // 0000000057E8: BF8CC07F
	s_barrier                                                  // 0000000057EC: BF8A0000
	v_max3_f32 v117, |v4|, |v5|, v117                          // 0000000057F0: D1D30375 05D60B04
	v_max3_f32 v117, |v6|, |v7|, v117                          // 0000000057F8: D1D30375 05D60F06
	v_max3_f32 v117, |v8|, |v9|, v117                          // 000000005800: D1D30375 05D61308
	v_max3_f32 v117, |v10|, |v11|, v117                        // 000000005808: D1D30375 05D6170A
	v_max3_f32 v117, |v12|, |v13|, v117                        // 000000005810: D1D30375 05D61B0C
	v_max3_f32 v117, |v14|, |v15|, v117                        // 000000005818: D1D30375 05D61F0E
	v_max3_f32 v117, |v16|, |v17|, v117                        // 000000005820: D1D30375 05D62310
	v_max3_f32 v117, |v18|, |v19|, v117                        // 000000005828: D1D30375 05D62712
	v_rcp_f32_e32 v117, v117                                   // 000000005830: 7EEA4575
	v_mov_b32_e32 v4, 0x43700000                               // 000000005834: 7E0802FF 43700000
	v_mul_f32_e32 v117, v4, v117                               // 00000000583C: 0AEAEB04
	v_mov_b32_e32 v4, v117                                     // 000000005840: 7E080375
	v_mov_b32_e32 v5, v4                                       // 000000005844: 7E0A0304
	v_pk_mul_f32 v[72:73], v[4:5], v[72:73]                    // 000000005848: D3B14048 18029104
	v_pk_mul_f32 v[74:75], v[4:5], v[74:75]                    // 000000005850: D3B1404A 18029504
	v_cvt_pk_fp8_f32 v72, v72, v73                             // 000000005858: D2A20048 00029348
	v_cvt_pk_fp8_f32 v72, v74, v75 op_sel:[0,0,1]              // 000000005860: D2A24048 0002974A
	v_pk_mul_f32 v[96:97], v[4:5], v[96:97]                    // 000000005868: D3B14060 1802C104
	v_pk_mul_f32 v[98:99], v[4:5], v[98:99]                    // 000000005870: D3B14062 1802C504
	v_cvt_pk_fp8_f32 v96, v96, v97                             // 000000005878: D2A20060 0002C360
	v_cvt_pk_fp8_f32 v96, v98, v99 op_sel:[0,0,1]              // 000000005880: D2A24060 0002C762
	v_rcp_f32_e32 v117, v117                                   // 000000005888: 7EEA4575
	v_mov_b32_e32 v118, 0x358637bd                             // 00000000588C: 7EEC02FF 358637BD
	v_max3_f32 v118, |v76|, |v77|, v118                        // 000000005894: D1D30376 05DA9B4C
	v_max3_f32 v118, |v78|, |v79|, v118                        // 00000000589C: D1D30376 05DA9F4E
	v_max3_f32 v118, |v100|, |v101|, v118                      // 0000000058A4: D1D30376 05DACB64
	v_max3_f32 v118, |v102|, |v103|, v118                      // 0000000058AC: D1D30376 05DACF66
	ds_write_b32 v122, v118                                    // 0000000058B4: D81A0000 0000767A
	s_waitcnt lgkmcnt(0)                                       // 0000000058BC: BF8CC07F
	s_barrier                                                  // 0000000058C0: BF8A0000
	ds_read_b32 v4, v123                                       // 0000000058C4: D86C0000 0400007B
	ds_read_b32 v5, v123 offset:64                             // 0000000058CC: D86C0040 0500007B
	ds_read_b32 v6, v123 offset:128                            // 0000000058D4: D86C0080 0600007B
	ds_read_b32 v7, v123 offset:192                            // 0000000058DC: D86C00C0 0700007B
	ds_read_b32 v8, v123 offset:256                            // 0000000058E4: D86C0100 0800007B
	ds_read_b32 v9, v123 offset:320                            // 0000000058EC: D86C0140 0900007B
	ds_read_b32 v10, v123 offset:384                           // 0000000058F4: D86C0180 0A00007B
	ds_read_b32 v11, v123 offset:448                           // 0000000058FC: D86C01C0 0B00007B
	ds_read_b32 v12, v123 offset:512                           // 000000005904: D86C0200 0C00007B
	ds_read_b32 v13, v123 offset:576                           // 00000000590C: D86C0240 0D00007B
	ds_read_b32 v14, v123 offset:640                           // 000000005914: D86C0280 0E00007B
	ds_read_b32 v15, v123 offset:704                           // 00000000591C: D86C02C0 0F00007B
	ds_read_b32 v16, v123 offset:768                           // 000000005924: D86C0300 1000007B
	ds_read_b32 v17, v123 offset:832                           // 00000000592C: D86C0340 1100007B
	ds_read_b32 v18, v123 offset:896                           // 000000005934: D86C0380 1200007B
	ds_read_b32 v19, v123 offset:960                           // 00000000593C: D86C03C0 1300007B
	s_waitcnt lgkmcnt(0)                                       // 000000005944: BF8CC07F
	s_barrier                                                  // 000000005948: BF8A0000
	v_max3_f32 v118, |v4|, |v5|, v118                          // 00000000594C: D1D30376 05DA0B04
	v_max3_f32 v118, |v6|, |v7|, v118                          // 000000005954: D1D30376 05DA0F06
	v_max3_f32 v118, |v8|, |v9|, v118                          // 00000000595C: D1D30376 05DA1308
	v_max3_f32 v118, |v10|, |v11|, v118                        // 000000005964: D1D30376 05DA170A
	v_max3_f32 v118, |v12|, |v13|, v118                        // 00000000596C: D1D30376 05DA1B0C
	v_max3_f32 v118, |v14|, |v15|, v118                        // 000000005974: D1D30376 05DA1F0E
	v_max3_f32 v118, |v16|, |v17|, v118                        // 00000000597C: D1D30376 05DA2310
	v_max3_f32 v118, |v18|, |v19|, v118                        // 000000005984: D1D30376 05DA2712
	v_rcp_f32_e32 v118, v118                                   // 00000000598C: 7EEC4576
	v_mov_b32_e32 v4, 0x43700000                               // 000000005990: 7E0802FF 43700000
	v_mul_f32_e32 v118, v4, v118                               // 000000005998: 0AECED04
	v_mov_b32_e32 v4, v118                                     // 00000000599C: 7E080376
	v_mov_b32_e32 v5, v4                                       // 0000000059A0: 7E0A0304
	v_pk_mul_f32 v[76:77], v[4:5], v[76:77]                    // 0000000059A4: D3B1404C 18029904
	v_pk_mul_f32 v[78:79], v[4:5], v[78:79]                    // 0000000059AC: D3B1404E 18029D04
	v_cvt_pk_fp8_f32 v76, v76, v77                             // 0000000059B4: D2A2004C 00029B4C
	v_cvt_pk_fp8_f32 v76, v78, v79 op_sel:[0,0,1]              // 0000000059BC: D2A2404C 00029F4E
	v_pk_mul_f32 v[100:101], v[4:5], v[100:101]                // 0000000059C4: D3B14064 1802C904
	v_pk_mul_f32 v[102:103], v[4:5], v[102:103]                // 0000000059CC: D3B14066 1802CD04
	v_cvt_pk_fp8_f32 v100, v100, v101                          // 0000000059D4: D2A20064 0002CB64
	v_cvt_pk_fp8_f32 v100, v102, v103 op_sel:[0,0,1]           // 0000000059DC: D2A24064 0002CF66
	v_rcp_f32_e32 v118, v118                                   // 0000000059E4: 7EEC4576
	v_mov_b32_e32 v119, 0x358637bd                             // 0000000059E8: 7EEE02FF 358637BD
	v_max3_f32 v119, |v80|, |v81|, v119                        // 0000000059F0: D1D30377 05DEA350
	v_max3_f32 v119, |v82|, |v83|, v119                        // 0000000059F8: D1D30377 05DEA752
	v_max3_f32 v119, |v104|, |v105|, v119                      // 000000005A00: D1D30377 05DED368
	v_max3_f32 v119, |v106|, |v107|, v119                      // 000000005A08: D1D30377 05DED76A
	ds_write_b32 v122, v119                                    // 000000005A10: D81A0000 0000777A
	s_waitcnt lgkmcnt(0)                                       // 000000005A18: BF8CC07F
	s_barrier                                                  // 000000005A1C: BF8A0000
	ds_read_b32 v4, v123                                       // 000000005A20: D86C0000 0400007B
	ds_read_b32 v5, v123 offset:64                             // 000000005A28: D86C0040 0500007B
	ds_read_b32 v6, v123 offset:128                            // 000000005A30: D86C0080 0600007B
	ds_read_b32 v7, v123 offset:192                            // 000000005A38: D86C00C0 0700007B
	ds_read_b32 v8, v123 offset:256                            // 000000005A40: D86C0100 0800007B
	ds_read_b32 v9, v123 offset:320                            // 000000005A48: D86C0140 0900007B
	ds_read_b32 v10, v123 offset:384                           // 000000005A50: D86C0180 0A00007B
	ds_read_b32 v11, v123 offset:448                           // 000000005A58: D86C01C0 0B00007B
	ds_read_b32 v12, v123 offset:512                           // 000000005A60: D86C0200 0C00007B
	ds_read_b32 v13, v123 offset:576                           // 000000005A68: D86C0240 0D00007B
	ds_read_b32 v14, v123 offset:640                           // 000000005A70: D86C0280 0E00007B
	ds_read_b32 v15, v123 offset:704                           // 000000005A78: D86C02C0 0F00007B
	ds_read_b32 v16, v123 offset:768                           // 000000005A80: D86C0300 1000007B
	ds_read_b32 v17, v123 offset:832                           // 000000005A88: D86C0340 1100007B
	ds_read_b32 v18, v123 offset:896                           // 000000005A90: D86C0380 1200007B
	ds_read_b32 v19, v123 offset:960                           // 000000005A98: D86C03C0 1300007B
	s_waitcnt lgkmcnt(0)                                       // 000000005AA0: BF8CC07F
	s_barrier                                                  // 000000005AA4: BF8A0000
	v_max3_f32 v119, |v4|, |v5|, v119                          // 000000005AA8: D1D30377 05DE0B04
	v_max3_f32 v119, |v6|, |v7|, v119                          // 000000005AB0: D1D30377 05DE0F06
	v_max3_f32 v119, |v8|, |v9|, v119                          // 000000005AB8: D1D30377 05DE1308
	v_max3_f32 v119, |v10|, |v11|, v119                        // 000000005AC0: D1D30377 05DE170A
	v_max3_f32 v119, |v12|, |v13|, v119                        // 000000005AC8: D1D30377 05DE1B0C
	v_max3_f32 v119, |v14|, |v15|, v119                        // 000000005AD0: D1D30377 05DE1F0E
	v_max3_f32 v119, |v16|, |v17|, v119                        // 000000005AD8: D1D30377 05DE2310
	v_max3_f32 v119, |v18|, |v19|, v119                        // 000000005AE0: D1D30377 05DE2712
	v_rcp_f32_e32 v119, v119                                   // 000000005AE8: 7EEE4577
	v_mov_b32_e32 v4, 0x43700000                               // 000000005AEC: 7E0802FF 43700000
	v_mul_f32_e32 v119, v4, v119                               // 000000005AF4: 0AEEEF04
	v_mov_b32_e32 v4, v119                                     // 000000005AF8: 7E080377
	v_mov_b32_e32 v5, v4                                       // 000000005AFC: 7E0A0304
	v_pk_mul_f32 v[80:81], v[4:5], v[80:81]                    // 000000005B00: D3B14050 1802A104
	v_pk_mul_f32 v[82:83], v[4:5], v[82:83]                    // 000000005B08: D3B14052 1802A504
	v_cvt_pk_fp8_f32 v80, v80, v81                             // 000000005B10: D2A20050 0002A350
	v_cvt_pk_fp8_f32 v80, v82, v83 op_sel:[0,0,1]              // 000000005B18: D2A24050 0002A752
	v_pk_mul_f32 v[104:105], v[4:5], v[104:105]                // 000000005B20: D3B14068 1802D104
	v_pk_mul_f32 v[106:107], v[4:5], v[106:107]                // 000000005B28: D3B1406A 1802D504
	v_cvt_pk_fp8_f32 v104, v104, v105                          // 000000005B30: D2A20068 0002D368
	v_cvt_pk_fp8_f32 v104, v106, v107 op_sel:[0,0,1]           // 000000005B38: D2A24068 0002D76A
	v_rcp_f32_e32 v119, v119                                   // 000000005B40: 7EEE4577
	v_mov_b32_e32 v120, 0x358637bd                             // 000000005B44: 7EF002FF 358637BD
	v_max3_f32 v120, |v84|, |v85|, v120                        // 000000005B4C: D1D30378 05E2AB54
	v_max3_f32 v120, |v86|, |v87|, v120                        // 000000005B54: D1D30378 05E2AF56
	v_max3_f32 v120, |v108|, |v109|, v120                      // 000000005B5C: D1D30378 05E2DB6C
	v_max3_f32 v120, |v110|, |v111|, v120                      // 000000005B64: D1D30378 05E2DF6E
	ds_write_b32 v122, v120                                    // 000000005B6C: D81A0000 0000787A
	s_waitcnt lgkmcnt(0)                                       // 000000005B74: BF8CC07F
	s_barrier                                                  // 000000005B78: BF8A0000
	ds_read_b32 v4, v123                                       // 000000005B7C: D86C0000 0400007B
	ds_read_b32 v5, v123 offset:64                             // 000000005B84: D86C0040 0500007B
	ds_read_b32 v6, v123 offset:128                            // 000000005B8C: D86C0080 0600007B
	ds_read_b32 v7, v123 offset:192                            // 000000005B94: D86C00C0 0700007B
	ds_read_b32 v8, v123 offset:256                            // 000000005B9C: D86C0100 0800007B
	ds_read_b32 v9, v123 offset:320                            // 000000005BA4: D86C0140 0900007B
	ds_read_b32 v10, v123 offset:384                           // 000000005BAC: D86C0180 0A00007B
	ds_read_b32 v11, v123 offset:448                           // 000000005BB4: D86C01C0 0B00007B
	ds_read_b32 v12, v123 offset:512                           // 000000005BBC: D86C0200 0C00007B
	ds_read_b32 v13, v123 offset:576                           // 000000005BC4: D86C0240 0D00007B
	ds_read_b32 v14, v123 offset:640                           // 000000005BCC: D86C0280 0E00007B
	ds_read_b32 v15, v123 offset:704                           // 000000005BD4: D86C02C0 0F00007B
	ds_read_b32 v16, v123 offset:768                           // 000000005BDC: D86C0300 1000007B
	ds_read_b32 v17, v123 offset:832                           // 000000005BE4: D86C0340 1100007B
	ds_read_b32 v18, v123 offset:896                           // 000000005BEC: D86C0380 1200007B
	ds_read_b32 v19, v123 offset:960                           // 000000005BF4: D86C03C0 1300007B
	s_waitcnt lgkmcnt(0)                                       // 000000005BFC: BF8CC07F
	s_barrier                                                  // 000000005C00: BF8A0000
	v_max3_f32 v120, |v4|, |v5|, v120                          // 000000005C04: D1D30378 05E20B04
	v_max3_f32 v120, |v6|, |v7|, v120                          // 000000005C0C: D1D30378 05E20F06
	v_max3_f32 v120, |v8|, |v9|, v120                          // 000000005C14: D1D30378 05E21308
	v_max3_f32 v120, |v10|, |v11|, v120                        // 000000005C1C: D1D30378 05E2170A
	v_max3_f32 v120, |v12|, |v13|, v120                        // 000000005C24: D1D30378 05E21B0C
	v_max3_f32 v120, |v14|, |v15|, v120                        // 000000005C2C: D1D30378 05E21F0E
	v_max3_f32 v120, |v16|, |v17|, v120                        // 000000005C34: D1D30378 05E22310
	v_max3_f32 v120, |v18|, |v19|, v120                        // 000000005C3C: D1D30378 05E22712
	v_rcp_f32_e32 v120, v120                                   // 000000005C44: 7EF04578
	v_mov_b32_e32 v4, 0x43700000                               // 000000005C48: 7E0802FF 43700000
	v_mul_f32_e32 v120, v4, v120                               // 000000005C50: 0AF0F104
	v_mov_b32_e32 v4, v120                                     // 000000005C54: 7E080378
	v_mov_b32_e32 v5, v4                                       // 000000005C58: 7E0A0304
	v_pk_mul_f32 v[84:85], v[4:5], v[84:85]                    // 000000005C5C: D3B14054 1802A904
	v_pk_mul_f32 v[86:87], v[4:5], v[86:87]                    // 000000005C64: D3B14056 1802AD04
	v_cvt_pk_fp8_f32 v84, v84, v85                             // 000000005C6C: D2A20054 0002AB54
	v_cvt_pk_fp8_f32 v84, v86, v87 op_sel:[0,0,1]              // 000000005C74: D2A24054 0002AF56
	v_pk_mul_f32 v[108:109], v[4:5], v[108:109]                // 000000005C7C: D3B1406C 1802D904
	v_pk_mul_f32 v[110:111], v[4:5], v[110:111]                // 000000005C84: D3B1406E 1802DD04
	v_cvt_pk_fp8_f32 v108, v108, v109                          // 000000005C8C: D2A2006C 0002DB6C
	v_cvt_pk_fp8_f32 v108, v110, v111 op_sel:[0,0,1]           // 000000005C94: D2A2406C 0002DF6E
	v_rcp_f32_e32 v120, v120                                   // 000000005C9C: 7EF04578
	v_mov_b32_e32 v121, 0x358637bd                             // 000000005CA0: 7EF202FF 358637BD
	v_max3_f32 v121, |v88|, |v89|, v121                        // 000000005CA8: D1D30379 05E6B358
	v_max3_f32 v121, |v90|, |v91|, v121                        // 000000005CB0: D1D30379 05E6B75A
	v_max3_f32 v121, |v112|, |v113|, v121                      // 000000005CB8: D1D30379 05E6E370
	v_max3_f32 v121, |v114|, |v115|, v121                      // 000000005CC0: D1D30379 05E6E772
	ds_write_b32 v122, v121                                    // 000000005CC8: D81A0000 0000797A
	s_waitcnt lgkmcnt(0)                                       // 000000005CD0: BF8CC07F
	s_barrier                                                  // 000000005CD4: BF8A0000
	ds_read_b32 v4, v123                                       // 000000005CD8: D86C0000 0400007B
	ds_read_b32 v5, v123 offset:64                             // 000000005CE0: D86C0040 0500007B
	ds_read_b32 v6, v123 offset:128                            // 000000005CE8: D86C0080 0600007B
	ds_read_b32 v7, v123 offset:192                            // 000000005CF0: D86C00C0 0700007B
	ds_read_b32 v8, v123 offset:256                            // 000000005CF8: D86C0100 0800007B
	ds_read_b32 v9, v123 offset:320                            // 000000005D00: D86C0140 0900007B
	ds_read_b32 v10, v123 offset:384                           // 000000005D08: D86C0180 0A00007B
	ds_read_b32 v11, v123 offset:448                           // 000000005D10: D86C01C0 0B00007B
	ds_read_b32 v12, v123 offset:512                           // 000000005D18: D86C0200 0C00007B
	ds_read_b32 v13, v123 offset:576                           // 000000005D20: D86C0240 0D00007B
	ds_read_b32 v14, v123 offset:640                           // 000000005D28: D86C0280 0E00007B
	ds_read_b32 v15, v123 offset:704                           // 000000005D30: D86C02C0 0F00007B
	ds_read_b32 v16, v123 offset:768                           // 000000005D38: D86C0300 1000007B
	ds_read_b32 v17, v123 offset:832                           // 000000005D40: D86C0340 1100007B
	ds_read_b32 v18, v123 offset:896                           // 000000005D48: D86C0380 1200007B
	ds_read_b32 v19, v123 offset:960                           // 000000005D50: D86C03C0 1300007B
	s_waitcnt lgkmcnt(0)                                       // 000000005D58: BF8CC07F
	s_barrier                                                  // 000000005D5C: BF8A0000
	v_max3_f32 v121, |v4|, |v5|, v121                          // 000000005D60: D1D30379 05E60B04
	v_max3_f32 v121, |v6|, |v7|, v121                          // 000000005D68: D1D30379 05E60F06
	v_max3_f32 v121, |v8|, |v9|, v121                          // 000000005D70: D1D30379 05E61308
	v_max3_f32 v121, |v10|, |v11|, v121                        // 000000005D78: D1D30379 05E6170A
	v_max3_f32 v121, |v12|, |v13|, v121                        // 000000005D80: D1D30379 05E61B0C
	v_max3_f32 v121, |v14|, |v15|, v121                        // 000000005D88: D1D30379 05E61F0E
	v_max3_f32 v121, |v16|, |v17|, v121                        // 000000005D90: D1D30379 05E62310
	v_max3_f32 v121, |v18|, |v19|, v121                        // 000000005D98: D1D30379 05E62712
	v_rcp_f32_e32 v121, v121                                   // 000000005DA0: 7EF24579
	v_mov_b32_e32 v4, 0x43700000                               // 000000005DA4: 7E0802FF 43700000
	v_mul_f32_e32 v121, v4, v121                               // 000000005DAC: 0AF2F304
	v_mov_b32_e32 v4, v121                                     // 000000005DB0: 7E080379
	v_mov_b32_e32 v5, v4                                       // 000000005DB4: 7E0A0304
	v_pk_mul_f32 v[88:89], v[4:5], v[88:89]                    // 000000005DB8: D3B14058 1802B104
	v_pk_mul_f32 v[90:91], v[4:5], v[90:91]                    // 000000005DC0: D3B1405A 1802B504
	v_cvt_pk_fp8_f32 v88, v88, v89                             // 000000005DC8: D2A20058 0002B358
	v_cvt_pk_fp8_f32 v88, v90, v91 op_sel:[0,0,1]              // 000000005DD0: D2A24058 0002B75A
	v_pk_mul_f32 v[112:113], v[4:5], v[112:113]                // 000000005DD8: D3B14070 1802E104
	v_pk_mul_f32 v[114:115], v[4:5], v[114:115]                // 000000005DE0: D3B14072 1802E504
	v_cvt_pk_fp8_f32 v112, v112, v113                          // 000000005DE8: D2A20070 0002E370
	v_cvt_pk_fp8_f32 v112, v114, v115 op_sel:[0,0,1]           // 000000005DF0: D2A24070 0002E772
	v_rcp_f32_e32 v121, v121                                   // 000000005DF8: 7EF24579
	v_lshrrev_b32_e32 v4, 5, v0                                // 000000005DFC: 20080085
	v_mul_lo_u32 v20, 34, v4                                   // 000000005E00: D2850014 000208A2
	v_and_b32_e32 v4, 31, v0                                   // 000000005E08: 2608009F
	v_lshrrev_b32_e32 v5, 4, v4                                // 000000005E0C: 200A0884
	v_add_u32_e32 v20, v5, v20                                 // 000000005E10: 68282905
	v_and_b32_e32 v4, 15, v0                                   // 000000005E14: 2608008F
	v_mul_lo_u32 v5, 2, v4                                     // 000000005E18: D2850005 00020882
	v_add_u32_e32 v20, v5, v20                                 // 000000005E20: 68282905
	s_mul_i32 s60, s7, 0x44                                    // 000000005E24: 923CFF07 00000044
	v_add_u32_e32 v20, s60, v20                                // 000000005E2C: 6828283C
	v_lshlrev_b32_e32 v20, 2, v20                              // 000000005E30: 24282882
	ds_write_b32 v20, v68                                      // 000000005E34: D81A0000 00004414
	ds_write_b32 v20, v72 offset:2176                          // 000000005E3C: D81A0880 00004814
	ds_write_b32 v20, v76 offset:4352                          // 000000005E44: D81A1100 00004C14
	ds_write_b32 v20, v80 offset:6528                          // 000000005E4C: D81A1980 00005014
	ds_write_b32 v20, v84 offset:8704                          // 000000005E54: D81A2200 00005414
	ds_write_b32 v20, v88 offset:10880                         // 000000005E5C: D81A2A80 00005814
	ds_write_b32 v20, v92 offset:1088                          // 000000005E64: D81A0440 00005C14
	ds_write_b32 v20, v96 offset:3264                          // 000000005E6C: D81A0CC0 00006014
	ds_write_b32 v20, v100 offset:5440                         // 000000005E74: D81A1540 00006414
	ds_write_b32 v20, v104 offset:7616                         // 000000005E7C: D81A1DC0 00006814
	ds_write_b32 v20, v108 offset:9792                         // 000000005E84: D81A2640 00006C14
	ds_write_b32 v20, v112 offset:11968                        // 000000005E8C: D81A2EC0 00007014
	v_lshrrev_b32_e32 v4, 5, v0                                // 000000005E94: 20080085
	v_xor_b32_e32 v5, 1, v4                                    // 000000005E98: 2A0A0881
	s_mul_i32 s60, s65, 1                                      // 000000005E9C: 923C8141
	s_cmp_eq_u32 s88, 0                                        // 000000005EA0: BF068058
	s_cselect_b32 s61, 1, 8                                    // 000000005EA4: 853D8881
	s_mul_i32 s60, s61, s60                                    // 000000005EA8: 923C3C3D
	v_readlane_b32 s82, v3, 0                                  // 000000005EAC: D2890052 00010103
	s_lshr_b32 s61, s82, 24                                    // 000000005EB4: 8F3D9852
	s_and_b32 s82, s82, 0xffffff                               // 000000005EB8: 8652FF52 00FFFFFF
	s_mul_i32 s82, s82, s71                                    // 000000005EC0: 92524752
	s_mul_i32 s61, s60, s61                                    // 000000005EC4: 923D3D3C
	s_add_u32 s82, s82, s61                                    // 000000005EC8: 80523D52
	v_mul_lo_u32 v6, v5, s82                                   // 000000005ECC: D2850006 0000A505
	v_readlane_b32 s82, v3, 1                                  // 000000005ED4: D2890052 00010303
	s_lshr_b32 s61, s82, 24                                    // 000000005EDC: 8F3D9852
	s_and_b32 s82, s82, 0xffffff                               // 000000005EE0: 8652FF52 00FFFFFF
	s_mul_i32 s82, s82, s71                                    // 000000005EE8: 92524752
	s_mul_i32 s61, s60, s61                                    // 000000005EEC: 923D3D3C
	s_add_u32 s82, s82, s61                                    // 000000005EF0: 80523D52
	v_mul_lo_u32 v7, v4, s82                                   // 000000005EF4: D2850007 0000A504
	v_add_u32_e32 v52, v6, v7                                  // 000000005EFC: 68680F06
	v_readlane_b32 s82, v3, 2                                  // 000000005F00: D2890052 00010503
	s_lshr_b32 s61, s82, 24                                    // 000000005F08: 8F3D9852
	s_and_b32 s82, s82, 0xffffff                               // 000000005F0C: 8652FF52 00FFFFFF
	s_mul_i32 s82, s82, s71                                    // 000000005F14: 92524752
	s_mul_i32 s61, s60, s61                                    // 000000005F18: 923D3D3C
	s_add_u32 s82, s82, s61                                    // 000000005F1C: 80523D52
	v_mul_lo_u32 v6, v5, s82                                   // 000000005F20: D2850006 0000A505
	v_readlane_b32 s82, v3, 3                                  // 000000005F28: D2890052 00010703
	s_lshr_b32 s61, s82, 24                                    // 000000005F30: 8F3D9852
	s_and_b32 s82, s82, 0xffffff                               // 000000005F34: 8652FF52 00FFFFFF
	s_mul_i32 s82, s82, s71                                    // 000000005F3C: 92524752
	s_mul_i32 s61, s60, s61                                    // 000000005F40: 923D3D3C
	s_add_u32 s82, s82, s61                                    // 000000005F44: 80523D52
	v_mul_lo_u32 v7, v4, s82                                   // 000000005F48: D2850007 0000A504
	v_add_u32_e32 v53, v6, v7                                  // 000000005F50: 686A0F06
	v_readlane_b32 s82, v3, 4                                  // 000000005F54: D2890052 00010903
	s_lshr_b32 s61, s82, 24                                    // 000000005F5C: 8F3D9852
	s_and_b32 s82, s82, 0xffffff                               // 000000005F60: 8652FF52 00FFFFFF
	s_mul_i32 s82, s82, s71                                    // 000000005F68: 92524752
	s_mul_i32 s61, s60, s61                                    // 000000005F6C: 923D3D3C
	s_add_u32 s82, s82, s61                                    // 000000005F70: 80523D52
	v_mul_lo_u32 v6, v5, s82                                   // 000000005F74: D2850006 0000A505
	v_readlane_b32 s82, v3, 5                                  // 000000005F7C: D2890052 00010B03
	s_lshr_b32 s61, s82, 24                                    // 000000005F84: 8F3D9852
	s_and_b32 s82, s82, 0xffffff                               // 000000005F88: 8652FF52 00FFFFFF
	s_mul_i32 s82, s82, s71                                    // 000000005F90: 92524752
	s_mul_i32 s61, s60, s61                                    // 000000005F94: 923D3D3C
	s_add_u32 s82, s82, s61                                    // 000000005F98: 80523D52
	v_mul_lo_u32 v7, v4, s82                                   // 000000005F9C: D2850007 0000A504
	v_add_u32_e32 v54, v6, v7                                  // 000000005FA4: 686C0F06
	v_readlane_b32 s82, v3, 6                                  // 000000005FA8: D2890052 00010D03
	s_lshr_b32 s61, s82, 24                                    // 000000005FB0: 8F3D9852
	s_and_b32 s82, s82, 0xffffff                               // 000000005FB4: 8652FF52 00FFFFFF
	s_mul_i32 s82, s82, s71                                    // 000000005FBC: 92524752
	s_mul_i32 s61, s60, s61                                    // 000000005FC0: 923D3D3C
	s_add_u32 s82, s82, s61                                    // 000000005FC4: 80523D52
	v_mul_lo_u32 v6, v5, s82                                   // 000000005FC8: D2850006 0000A505
	v_readlane_b32 s82, v3, 7                                  // 000000005FD0: D2890052 00010F03
	s_lshr_b32 s61, s82, 24                                    // 000000005FD8: 8F3D9852
	s_and_b32 s82, s82, 0xffffff                               // 000000005FDC: 8652FF52 00FFFFFF
	s_mul_i32 s82, s82, s71                                    // 000000005FE4: 92524752
	s_mul_i32 s61, s60, s61                                    // 000000005FE8: 923D3D3C
	s_add_u32 s82, s82, s61                                    // 000000005FEC: 80523D52
	v_mul_lo_u32 v7, v4, s82                                   // 000000005FF0: D2850007 0000A504
	v_add_u32_e32 v55, v6, v7                                  // 000000005FF8: 686E0F06
	v_readlane_b32 s82, v3, 8                                  // 000000005FFC: D2890052 00011103
	s_lshr_b32 s61, s82, 24                                    // 000000006004: 8F3D9852
	s_and_b32 s82, s82, 0xffffff                               // 000000006008: 8652FF52 00FFFFFF
	s_mul_i32 s82, s82, s71                                    // 000000006010: 92524752
	s_mul_i32 s61, s60, s61                                    // 000000006014: 923D3D3C
	s_add_u32 s82, s82, s61                                    // 000000006018: 80523D52
	v_mul_lo_u32 v6, v5, s82                                   // 00000000601C: D2850006 0000A505
	v_readlane_b32 s82, v3, 9                                  // 000000006024: D2890052 00011303
	s_lshr_b32 s61, s82, 24                                    // 00000000602C: 8F3D9852
	s_and_b32 s82, s82, 0xffffff                               // 000000006030: 8652FF52 00FFFFFF
	s_mul_i32 s82, s82, s71                                    // 000000006038: 92524752
	s_mul_i32 s61, s60, s61                                    // 00000000603C: 923D3D3C
	s_add_u32 s82, s82, s61                                    // 000000006040: 80523D52
	v_mul_lo_u32 v7, v4, s82                                   // 000000006044: D2850007 0000A504
	v_add_u32_e32 v56, v6, v7                                  // 00000000604C: 68700F06
	v_readlane_b32 s82, v3, 10                                 // 000000006050: D2890052 00011503
	s_lshr_b32 s61, s82, 24                                    // 000000006058: 8F3D9852
	s_and_b32 s82, s82, 0xffffff                               // 00000000605C: 8652FF52 00FFFFFF
	s_mul_i32 s82, s82, s71                                    // 000000006064: 92524752
	s_mul_i32 s61, s60, s61                                    // 000000006068: 923D3D3C
	s_add_u32 s82, s82, s61                                    // 00000000606C: 80523D52
	v_mul_lo_u32 v6, v5, s82                                   // 000000006070: D2850006 0000A505
	v_readlane_b32 s82, v3, 11                                 // 000000006078: D2890052 00011703
	s_lshr_b32 s61, s82, 24                                    // 000000006080: 8F3D9852
	s_and_b32 s82, s82, 0xffffff                               // 000000006084: 8652FF52 00FFFFFF
	s_mul_i32 s82, s82, s71                                    // 00000000608C: 92524752
	s_mul_i32 s61, s60, s61                                    // 000000006090: 923D3D3C
	s_add_u32 s82, s82, s61                                    // 000000006094: 80523D52
	v_mul_lo_u32 v7, v4, s82                                   // 000000006098: D2850007 0000A504
	v_add_u32_e32 v57, v6, v7                                  // 0000000060A0: 68720F06
	v_readlane_b32 s82, v3, 12                                 // 0000000060A4: D2890052 00011903
	s_lshr_b32 s61, s82, 24                                    // 0000000060AC: 8F3D9852
	s_and_b32 s82, s82, 0xffffff                               // 0000000060B0: 8652FF52 00FFFFFF
	s_mul_i32 s82, s82, s71                                    // 0000000060B8: 92524752
	s_mul_i32 s61, s60, s61                                    // 0000000060BC: 923D3D3C
	s_add_u32 s82, s82, s61                                    // 0000000060C0: 80523D52
	v_mul_lo_u32 v6, v5, s82                                   // 0000000060C4: D2850006 0000A505
	v_readlane_b32 s82, v3, 13                                 // 0000000060CC: D2890052 00011B03
	s_lshr_b32 s61, s82, 24                                    // 0000000060D4: 8F3D9852
	s_and_b32 s82, s82, 0xffffff                               // 0000000060D8: 8652FF52 00FFFFFF
	s_mul_i32 s82, s82, s71                                    // 0000000060E0: 92524752
	s_mul_i32 s61, s60, s61                                    // 0000000060E4: 923D3D3C
	s_add_u32 s82, s82, s61                                    // 0000000060E8: 80523D52
	v_mul_lo_u32 v7, v4, s82                                   // 0000000060EC: D2850007 0000A504
	v_add_u32_e32 v58, v6, v7                                  // 0000000060F4: 68740F06
	v_readlane_b32 s82, v3, 14                                 // 0000000060F8: D2890052 00011D03
	s_lshr_b32 s61, s82, 24                                    // 000000006100: 8F3D9852
	s_and_b32 s82, s82, 0xffffff                               // 000000006104: 8652FF52 00FFFFFF
	s_mul_i32 s82, s82, s71                                    // 00000000610C: 92524752
	s_mul_i32 s61, s60, s61                                    // 000000006110: 923D3D3C
	s_add_u32 s82, s82, s61                                    // 000000006114: 80523D52
	v_mul_lo_u32 v6, v5, s82                                   // 000000006118: D2850006 0000A505
	v_readlane_b32 s82, v3, 15                                 // 000000006120: D2890052 00011F03
	s_lshr_b32 s61, s82, 24                                    // 000000006128: 8F3D9852
	s_and_b32 s82, s82, 0xffffff                               // 00000000612C: 8652FF52 00FFFFFF
	s_mul_i32 s82, s82, s71                                    // 000000006134: 92524752
	s_mul_i32 s61, s60, s61                                    // 000000006138: 923D3D3C
	s_add_u32 s82, s82, s61                                    // 00000000613C: 80523D52
	v_mul_lo_u32 v7, v4, s82                                   // 000000006140: D2850007 0000A504
	v_add_u32_e32 v59, v6, v7                                  // 000000006148: 68760F06
	v_readlane_b32 s82, v3, 16                                 // 00000000614C: D2890052 00012103
	s_lshr_b32 s61, s82, 24                                    // 000000006154: 8F3D9852
	s_and_b32 s82, s82, 0xffffff                               // 000000006158: 8652FF52 00FFFFFF
	s_mul_i32 s82, s82, s71                                    // 000000006160: 92524752
	s_mul_i32 s61, s60, s61                                    // 000000006164: 923D3D3C
	s_add_u32 s82, s82, s61                                    // 000000006168: 80523D52
	v_mul_lo_u32 v6, v5, s82                                   // 00000000616C: D2850006 0000A505
	v_readlane_b32 s82, v3, 17                                 // 000000006174: D2890052 00012303
	s_lshr_b32 s61, s82, 24                                    // 00000000617C: 8F3D9852
	s_and_b32 s82, s82, 0xffffff                               // 000000006180: 8652FF52 00FFFFFF
	s_mul_i32 s82, s82, s71                                    // 000000006188: 92524752
	s_mul_i32 s61, s60, s61                                    // 00000000618C: 923D3D3C
	s_add_u32 s82, s82, s61                                    // 000000006190: 80523D52
	v_mul_lo_u32 v7, v4, s82                                   // 000000006194: D2850007 0000A504
	v_add_u32_e32 v60, v6, v7                                  // 00000000619C: 68780F06
	v_readlane_b32 s82, v3, 18                                 // 0000000061A0: D2890052 00012503
	s_lshr_b32 s61, s82, 24                                    // 0000000061A8: 8F3D9852
	s_and_b32 s82, s82, 0xffffff                               // 0000000061AC: 8652FF52 00FFFFFF
	s_mul_i32 s82, s82, s71                                    // 0000000061B4: 92524752
	s_mul_i32 s61, s60, s61                                    // 0000000061B8: 923D3D3C
	s_add_u32 s82, s82, s61                                    // 0000000061BC: 80523D52
	v_mul_lo_u32 v6, v5, s82                                   // 0000000061C0: D2850006 0000A505
	v_readlane_b32 s82, v3, 19                                 // 0000000061C8: D2890052 00012703
	s_lshr_b32 s61, s82, 24                                    // 0000000061D0: 8F3D9852
	s_and_b32 s82, s82, 0xffffff                               // 0000000061D4: 8652FF52 00FFFFFF
	s_mul_i32 s82, s82, s71                                    // 0000000061DC: 92524752
	s_mul_i32 s61, s60, s61                                    // 0000000061E0: 923D3D3C
	s_add_u32 s82, s82, s61                                    // 0000000061E4: 80523D52
	v_mul_lo_u32 v7, v4, s82                                   // 0000000061E8: D2850007 0000A504
	v_add_u32_e32 v61, v6, v7                                  // 0000000061F0: 687A0F06
	v_readlane_b32 s82, v3, 20                                 // 0000000061F4: D2890052 00012903
	s_lshr_b32 s61, s82, 24                                    // 0000000061FC: 8F3D9852
	s_and_b32 s82, s82, 0xffffff                               // 000000006200: 8652FF52 00FFFFFF
	s_mul_i32 s82, s82, s71                                    // 000000006208: 92524752
	s_mul_i32 s61, s60, s61                                    // 00000000620C: 923D3D3C
	s_add_u32 s82, s82, s61                                    // 000000006210: 80523D52
	v_mul_lo_u32 v6, v5, s82                                   // 000000006214: D2850006 0000A505
	v_readlane_b32 s82, v3, 21                                 // 00000000621C: D2890052 00012B03
	s_lshr_b32 s61, s82, 24                                    // 000000006224: 8F3D9852
	s_and_b32 s82, s82, 0xffffff                               // 000000006228: 8652FF52 00FFFFFF
	s_mul_i32 s82, s82, s71                                    // 000000006230: 92524752
	s_mul_i32 s61, s60, s61                                    // 000000006234: 923D3D3C
	s_add_u32 s82, s82, s61                                    // 000000006238: 80523D52
	v_mul_lo_u32 v7, v4, s82                                   // 00000000623C: D2850007 0000A504
	v_add_u32_e32 v62, v6, v7                                  // 000000006244: 687C0F06
	v_readlane_b32 s82, v3, 22                                 // 000000006248: D2890052 00012D03
	s_lshr_b32 s61, s82, 24                                    // 000000006250: 8F3D9852
	s_and_b32 s82, s82, 0xffffff                               // 000000006254: 8652FF52 00FFFFFF
	s_mul_i32 s82, s82, s71                                    // 00000000625C: 92524752
	s_mul_i32 s61, s60, s61                                    // 000000006260: 923D3D3C
	s_add_u32 s82, s82, s61                                    // 000000006264: 80523D52
	v_mul_lo_u32 v6, v5, s82                                   // 000000006268: D2850006 0000A505
	v_readlane_b32 s82, v3, 23                                 // 000000006270: D2890052 00012F03
	s_lshr_b32 s61, s82, 24                                    // 000000006278: 8F3D9852
	s_and_b32 s82, s82, 0xffffff                               // 00000000627C: 8652FF52 00FFFFFF
	s_mul_i32 s82, s82, s71                                    // 000000006284: 92524752
	s_mul_i32 s61, s60, s61                                    // 000000006288: 923D3D3C
	s_add_u32 s82, s82, s61                                    // 00000000628C: 80523D52
	v_mul_lo_u32 v7, v4, s82                                   // 000000006290: D2850007 0000A504
	v_add_u32_e32 v63, v6, v7                                  // 000000006298: 687E0F06
	v_and_b32_e32 v4, 31, v0                                   // 00000000629C: 2608009F
	v_lshrrev_b32_e32 v4, 1, v4                                // 0000000062A0: 20080881
	s_cmp_eq_u32 s88, 0                                        // 0000000062A4: BF068058
	s_cselect_b32 s61, 2, 4                                    // 0000000062A8: 853D8482
	v_mul_lo_u32 v4, v4, s61                                   // 0000000062AC: D2850004 00007B04
	v_and_b32_e64 v5, v0, 1                                    // 0000000062B4: D1130005 00010300
	v_add_u32_e32 v4, v4, v5                                   // 0000000062BC: 68080B04
	v_lshlrev_b32_e32 v4, 2, v4                                // 0000000062C0: 24080882
	v_add_u32_e32 v52, v52, v4                                 // 0000000062C4: 68680934
	v_add_u32_e32 v53, v53, v4                                 // 0000000062C8: 686A0935
	v_add_u32_e32 v54, v54, v4                                 // 0000000062CC: 686C0936
	v_add_u32_e32 v55, v55, v4                                 // 0000000062D0: 686E0937
	v_add_u32_e32 v56, v56, v4                                 // 0000000062D4: 68700938
	v_add_u32_e32 v57, v57, v4                                 // 0000000062D8: 68720939
	v_add_u32_e32 v58, v58, v4                                 // 0000000062DC: 6874093A
	v_add_u32_e32 v59, v59, v4                                 // 0000000062E0: 6876093B
	v_add_u32_e32 v60, v60, v4                                 // 0000000062E4: 6878093C
	v_add_u32_e32 v61, v61, v4                                 // 0000000062E8: 687A093D
	v_add_u32_e32 v62, v62, v4                                 // 0000000062EC: 687C093E
	v_add_u32_e32 v63, v63, v4                                 // 0000000062F0: 687E093F
	s_waitcnt lgkmcnt(0)                                       // 0000000062F4: BF8CC07F
	s_barrier                                                  // 0000000062F8: BF8A0000
	ds_read_b32 v68, v21                                       // 0000000062FC: D86C0000 44000015
	ds_read_b32 v69, v21 offset:64                             // 000000006304: D86C0040 45000015
	ds_read_b32 v70, v21 offset:2176                           // 00000000630C: D86C0880 46000015
	ds_read_b32 v71, v21 offset:2240                           // 000000006314: D86C08C0 47000015
	ds_read_b32 v72, v21 offset:4352                           // 00000000631C: D86C1100 48000015
	ds_read_b32 v73, v21 offset:4416                           // 000000006324: D86C1140 49000015
	ds_read_b32 v74, v21 offset:6528                           // 00000000632C: D86C1980 4A000015
	ds_read_b32 v75, v21 offset:6592                           // 000000006334: D86C19C0 4B000015
	ds_read_b32 v76, v21 offset:8704                           // 00000000633C: D86C2200 4C000015
	ds_read_b32 v77, v21 offset:8768                           // 000000006344: D86C2240 4D000015
	ds_read_b32 v78, v21 offset:10880                          // 00000000634C: D86C2A80 4E000015
	ds_read_b32 v79, v21 offset:10944                          // 000000006354: D86C2AC0 4F000015
	s_waitcnt lgkmcnt(0)                                       // 00000000635C: BF8CC07F
	s_mov_b32 s36, -1                                          // 000000006360: BEA400C1
	s_mov_b32 s37, -1                                          // 000000006364: BEA500C1
	v_mov_b32_e32 v7, 0                                        // 000000006368: 7E0E0280
	s_or_b32 s9, s9, 0x40000                                   // 00000000636C: 8709FF09 00040000
	s_mov_b64 exec, s[36:37]                                   // 000000006374: BEFE0124
	v_mov_b32_e32 v6, v52                                      // 000000006378: 7E0C0334
	s_mov_b64 s[60:61], 0                                      // 00000000637C: BEBC0180
	v_readlane_b32 s82, v3, 0                                  // 000000006380: D2890052 00010103
	s_and_b32 s82, s82, 0xffffff                               // 000000006388: 8652FF52 00FFFFFF
	s_cmp_lt_u32 s82, s66                                      // 000000006390: BF0A4252
	s_cselect_b32 s20, s36, s60                                // 000000006394: 85143C24
	v_readlane_b32 s82, v3, 1                                  // 000000006398: D2890052 00010303
	s_and_b32 s82, s82, 0xffffff                               // 0000000063A0: 8652FF52 00FFFFFF
	s_cmp_lt_u32 s82, s66                                      // 0000000063A8: BF0A4252
	s_cselect_b32 s21, s36, s60                                // 0000000063AC: 85153C24
	s_mov_b64 exec, s[20:21]                                   // 0000000063B0: BEFE0114
	buffer_store_dword v68, v6, s[8:11], 0 offen               // 0000000063B4: E0701000 80024406
	s_mov_b64 exec, s[36:37]                                   // 0000000063BC: BEFE0124
	v_mov_b32_e32 v6, v53                                      // 0000000063C0: 7E0C0335
	s_mov_b64 s[60:61], 0                                      // 0000000063C4: BEBC0180
	v_readlane_b32 s82, v3, 2                                  // 0000000063C8: D2890052 00010503
	s_and_b32 s82, s82, 0xffffff                               // 0000000063D0: 8652FF52 00FFFFFF
	s_cmp_lt_u32 s82, s66                                      // 0000000063D8: BF0A4252
	s_cselect_b32 s20, s36, s60                                // 0000000063DC: 85143C24
	v_readlane_b32 s82, v3, 3                                  // 0000000063E0: D2890052 00010703
	s_and_b32 s82, s82, 0xffffff                               // 0000000063E8: 8652FF52 00FFFFFF
	s_cmp_lt_u32 s82, s66                                      // 0000000063F0: BF0A4252
	s_cselect_b32 s21, s36, s60                                // 0000000063F4: 85153C24
	s_mov_b64 exec, s[20:21]                                   // 0000000063F8: BEFE0114
	buffer_store_dword v69, v6, s[8:11], 0 offen               // 0000000063FC: E0701000 80024506
	s_mov_b64 exec, s[36:37]                                   // 000000006404: BEFE0124
	v_mov_b32_e32 v6, v54                                      // 000000006408: 7E0C0336
	s_mov_b64 s[60:61], 0                                      // 00000000640C: BEBC0180
	v_readlane_b32 s82, v3, 4                                  // 000000006410: D2890052 00010903
	s_and_b32 s82, s82, 0xffffff                               // 000000006418: 8652FF52 00FFFFFF
	s_cmp_lt_u32 s82, s66                                      // 000000006420: BF0A4252
	s_cselect_b32 s20, s36, s60                                // 000000006424: 85143C24
	v_readlane_b32 s82, v3, 5                                  // 000000006428: D2890052 00010B03
	s_and_b32 s82, s82, 0xffffff                               // 000000006430: 8652FF52 00FFFFFF
	s_cmp_lt_u32 s82, s66                                      // 000000006438: BF0A4252
	s_cselect_b32 s21, s36, s60                                // 00000000643C: 85153C24
	s_mov_b64 exec, s[20:21]                                   // 000000006440: BEFE0114
	buffer_store_dword v70, v6, s[8:11], 0 offen               // 000000006444: E0701000 80024606
	s_mov_b64 exec, s[36:37]                                   // 00000000644C: BEFE0124
	v_mov_b32_e32 v6, v55                                      // 000000006450: 7E0C0337
	s_mov_b64 s[60:61], 0                                      // 000000006454: BEBC0180
	v_readlane_b32 s82, v3, 6                                  // 000000006458: D2890052 00010D03
	s_and_b32 s82, s82, 0xffffff                               // 000000006460: 8652FF52 00FFFFFF
	s_cmp_lt_u32 s82, s66                                      // 000000006468: BF0A4252
	s_cselect_b32 s20, s36, s60                                // 00000000646C: 85143C24
	v_readlane_b32 s82, v3, 7                                  // 000000006470: D2890052 00010F03
	s_and_b32 s82, s82, 0xffffff                               // 000000006478: 8652FF52 00FFFFFF
	s_cmp_lt_u32 s82, s66                                      // 000000006480: BF0A4252
	s_cselect_b32 s21, s36, s60                                // 000000006484: 85153C24
	s_mov_b64 exec, s[20:21]                                   // 000000006488: BEFE0114
	buffer_store_dword v71, v6, s[8:11], 0 offen               // 00000000648C: E0701000 80024706
	s_mov_b64 exec, s[36:37]                                   // 000000006494: BEFE0124
	v_mov_b32_e32 v6, v56                                      // 000000006498: 7E0C0338
	s_mov_b64 s[60:61], 0                                      // 00000000649C: BEBC0180
	v_readlane_b32 s82, v3, 8                                  // 0000000064A0: D2890052 00011103
	s_and_b32 s82, s82, 0xffffff                               // 0000000064A8: 8652FF52 00FFFFFF
	s_cmp_lt_u32 s82, s66                                      // 0000000064B0: BF0A4252
	s_cselect_b32 s20, s36, s60                                // 0000000064B4: 85143C24
	v_readlane_b32 s82, v3, 9                                  // 0000000064B8: D2890052 00011303
	s_and_b32 s82, s82, 0xffffff                               // 0000000064C0: 8652FF52 00FFFFFF
	s_cmp_lt_u32 s82, s66                                      // 0000000064C8: BF0A4252
	s_cselect_b32 s21, s36, s60                                // 0000000064CC: 85153C24
	s_mov_b64 exec, s[20:21]                                   // 0000000064D0: BEFE0114
	buffer_store_dword v72, v6, s[8:11], 0 offen               // 0000000064D4: E0701000 80024806
	s_mov_b64 exec, s[36:37]                                   // 0000000064DC: BEFE0124
	v_mov_b32_e32 v6, v57                                      // 0000000064E0: 7E0C0339
	s_mov_b64 s[60:61], 0                                      // 0000000064E4: BEBC0180
	v_readlane_b32 s82, v3, 10                                 // 0000000064E8: D2890052 00011503
	s_and_b32 s82, s82, 0xffffff                               // 0000000064F0: 8652FF52 00FFFFFF
	s_cmp_lt_u32 s82, s66                                      // 0000000064F8: BF0A4252
	s_cselect_b32 s20, s36, s60                                // 0000000064FC: 85143C24
	v_readlane_b32 s82, v3, 11                                 // 000000006500: D2890052 00011703
	s_and_b32 s82, s82, 0xffffff                               // 000000006508: 8652FF52 00FFFFFF
	s_cmp_lt_u32 s82, s66                                      // 000000006510: BF0A4252
	s_cselect_b32 s21, s36, s60                                // 000000006514: 85153C24
	s_mov_b64 exec, s[20:21]                                   // 000000006518: BEFE0114
	buffer_store_dword v73, v6, s[8:11], 0 offen               // 00000000651C: E0701000 80024906
	s_mov_b64 exec, s[36:37]                                   // 000000006524: BEFE0124
	v_mov_b32_e32 v6, v58                                      // 000000006528: 7E0C033A
	s_mov_b64 s[60:61], 0                                      // 00000000652C: BEBC0180
	v_readlane_b32 s82, v3, 12                                 // 000000006530: D2890052 00011903
	s_and_b32 s82, s82, 0xffffff                               // 000000006538: 8652FF52 00FFFFFF
	s_cmp_lt_u32 s82, s66                                      // 000000006540: BF0A4252
	s_cselect_b32 s20, s36, s60                                // 000000006544: 85143C24
	v_readlane_b32 s82, v3, 13                                 // 000000006548: D2890052 00011B03
	s_and_b32 s82, s82, 0xffffff                               // 000000006550: 8652FF52 00FFFFFF
	s_cmp_lt_u32 s82, s66                                      // 000000006558: BF0A4252
	s_cselect_b32 s21, s36, s60                                // 00000000655C: 85153C24
	s_mov_b64 exec, s[20:21]                                   // 000000006560: BEFE0114
	buffer_store_dword v74, v6, s[8:11], 0 offen               // 000000006564: E0701000 80024A06
	s_mov_b64 exec, s[36:37]                                   // 00000000656C: BEFE0124
	v_mov_b32_e32 v6, v59                                      // 000000006570: 7E0C033B
	s_mov_b64 s[60:61], 0                                      // 000000006574: BEBC0180
	v_readlane_b32 s82, v3, 14                                 // 000000006578: D2890052 00011D03
	s_and_b32 s82, s82, 0xffffff                               // 000000006580: 8652FF52 00FFFFFF
	s_cmp_lt_u32 s82, s66                                      // 000000006588: BF0A4252
	s_cselect_b32 s20, s36, s60                                // 00000000658C: 85143C24
	v_readlane_b32 s82, v3, 15                                 // 000000006590: D2890052 00011F03
	s_and_b32 s82, s82, 0xffffff                               // 000000006598: 8652FF52 00FFFFFF
	s_cmp_lt_u32 s82, s66                                      // 0000000065A0: BF0A4252
	s_cselect_b32 s21, s36, s60                                // 0000000065A4: 85153C24
	s_mov_b64 exec, s[20:21]                                   // 0000000065A8: BEFE0114
	buffer_store_dword v75, v6, s[8:11], 0 offen               // 0000000065AC: E0701000 80024B06
	s_mov_b64 exec, s[36:37]                                   // 0000000065B4: BEFE0124
	v_mov_b32_e32 v6, v60                                      // 0000000065B8: 7E0C033C
	s_mov_b64 s[60:61], 0                                      // 0000000065BC: BEBC0180
	v_readlane_b32 s82, v3, 16                                 // 0000000065C0: D2890052 00012103
	s_and_b32 s82, s82, 0xffffff                               // 0000000065C8: 8652FF52 00FFFFFF
	s_cmp_lt_u32 s82, s66                                      // 0000000065D0: BF0A4252
	s_cselect_b32 s20, s36, s60                                // 0000000065D4: 85143C24
	v_readlane_b32 s82, v3, 17                                 // 0000000065D8: D2890052 00012303
	s_and_b32 s82, s82, 0xffffff                               // 0000000065E0: 8652FF52 00FFFFFF
	s_cmp_lt_u32 s82, s66                                      // 0000000065E8: BF0A4252
	s_cselect_b32 s21, s36, s60                                // 0000000065EC: 85153C24
	s_mov_b64 exec, s[20:21]                                   // 0000000065F0: BEFE0114
	buffer_store_dword v76, v6, s[8:11], 0 offen               // 0000000065F4: E0701000 80024C06
	s_mov_b64 exec, s[36:37]                                   // 0000000065FC: BEFE0124
	v_mov_b32_e32 v6, v61                                      // 000000006600: 7E0C033D
	s_mov_b64 s[60:61], 0                                      // 000000006604: BEBC0180
	v_readlane_b32 s82, v3, 18                                 // 000000006608: D2890052 00012503
	s_and_b32 s82, s82, 0xffffff                               // 000000006610: 8652FF52 00FFFFFF
	s_cmp_lt_u32 s82, s66                                      // 000000006618: BF0A4252
	s_cselect_b32 s20, s36, s60                                // 00000000661C: 85143C24
	v_readlane_b32 s82, v3, 19                                 // 000000006620: D2890052 00012703
	s_and_b32 s82, s82, 0xffffff                               // 000000006628: 8652FF52 00FFFFFF
	s_cmp_lt_u32 s82, s66                                      // 000000006630: BF0A4252
	s_cselect_b32 s21, s36, s60                                // 000000006634: 85153C24
	s_mov_b64 exec, s[20:21]                                   // 000000006638: BEFE0114
	buffer_store_dword v77, v6, s[8:11], 0 offen               // 00000000663C: E0701000 80024D06
	s_mov_b64 exec, s[36:37]                                   // 000000006644: BEFE0124
	v_mov_b32_e32 v6, v62                                      // 000000006648: 7E0C033E
	s_mov_b64 s[60:61], 0                                      // 00000000664C: BEBC0180
	v_readlane_b32 s82, v3, 20                                 // 000000006650: D2890052 00012903
	s_and_b32 s82, s82, 0xffffff                               // 000000006658: 8652FF52 00FFFFFF
	s_cmp_lt_u32 s82, s66                                      // 000000006660: BF0A4252
	s_cselect_b32 s20, s36, s60                                // 000000006664: 85143C24
	v_readlane_b32 s82, v3, 21                                 // 000000006668: D2890052 00012B03
	s_and_b32 s82, s82, 0xffffff                               // 000000006670: 8652FF52 00FFFFFF
	s_cmp_lt_u32 s82, s66                                      // 000000006678: BF0A4252
	s_cselect_b32 s21, s36, s60                                // 00000000667C: 85153C24
	s_mov_b64 exec, s[20:21]                                   // 000000006680: BEFE0114
	buffer_store_dword v78, v6, s[8:11], 0 offen               // 000000006684: E0701000 80024E06
	s_mov_b64 exec, s[36:37]                                   // 00000000668C: BEFE0124
	v_mov_b32_e32 v6, v63                                      // 000000006690: 7E0C033F
	s_mov_b64 s[60:61], 0                                      // 000000006694: BEBC0180
	v_readlane_b32 s82, v3, 22                                 // 000000006698: D2890052 00012D03
	s_and_b32 s82, s82, 0xffffff                               // 0000000066A0: 8652FF52 00FFFFFF
	s_cmp_lt_u32 s82, s66                                      // 0000000066A8: BF0A4252
	s_cselect_b32 s20, s36, s60                                // 0000000066AC: 85143C24
	v_readlane_b32 s82, v3, 23                                 // 0000000066B0: D2890052 00012F03
	s_and_b32 s82, s82, 0xffffff                               // 0000000066B8: 8652FF52 00FFFFFF
	s_cmp_lt_u32 s82, s66                                      // 0000000066C0: BF0A4252
	s_cselect_b32 s21, s36, s60                                // 0000000066C4: 85153C24
	s_mov_b64 exec, s[20:21]                                   // 0000000066C8: BEFE0114
	buffer_store_dword v79, v6, s[8:11], 0 offen               // 0000000066CC: E0701000 80024F06
	s_mov_b64 exec, s[36:37]                                   // 0000000066D4: BEFE0124
	s_cmp_eq_u32 s7, 0                                         // 0000000066D8: BF068007
	s_cbranch_scc0 label_282C                                  // 0000000066DC: BF8418F1
	s_waitcnt vmcnt(12)                                        // 0000000066E0: BF8C0F7C
	s_mov_b32 s8, s90                                          // 0000000066E4: BE88005A
	s_mov_b32 s9, s91                                          // 0000000066E8: BE89005B
	s_mul_i32 s60, s66, s71                                    // 0000000066EC: 923C4742
	s_add_u32 s8, s60, s8                                      // 0000000066F0: 8008083C
	s_addc_u32 s9, 0, s9                                       // 0000000066F4: 82090980
	s_lshr_b32 s71, s71, 5                                     // 0000000066F8: 8F478547
	s_mul_i32 s60, s66, s71                                    // 0000000066FC: 923C4742
	s_mov_b32 s10, s60                                         // 000000006700: BE8A003C
	s_lshr_b32 s61, s65, 5                                     // 000000006704: 8F3D8541
	s_mul_i32 s60, s2, 4                                       // 000000006708: 923C8402
	v_lshrrev_b32_e32 v4, 24, v28                              // 00000000670C: 20083898
	v_mul_lo_u32 v4, s61, v4                                   // 000000006710: D2850004 0002083D
	v_and_b32_e32 v28, 0xffffff, v28                           // 000000006718: 263838FF 00FFFFFF
	v_mul_lo_u32 v28, s71, v28                                 // 000000006720: D285001C 00023847
	v_add_u32_e32 v28, v4, v28                                 // 000000006728: 68383904
	v_add_u32_e32 v28, s60, v28                                // 00000000672C: 6838383C
	v_lshrrev_b32_e32 v4, 24, v29                              // 000000006730: 20083A98
	v_mul_lo_u32 v4, s61, v4                                   // 000000006734: D2850004 0002083D
	v_and_b32_e32 v29, 0xffffff, v29                           // 00000000673C: 263A3AFF 00FFFFFF
	v_mul_lo_u32 v29, s71, v29                                 // 000000006744: D285001D 00023A47
	v_add_u32_e32 v29, v4, v29                                 // 00000000674C: 683A3B04
	v_add_u32_e32 v29, s60, v29                                // 000000006750: 683A3A3C
	v_lshrrev_b32_e32 v4, 24, v30                              // 000000006754: 20083C98
	v_mul_lo_u32 v4, s61, v4                                   // 000000006758: D2850004 0002083D
	v_and_b32_e32 v30, 0xffffff, v30                           // 000000006760: 263C3CFF 00FFFFFF
	v_mul_lo_u32 v30, s71, v30                                 // 000000006768: D285001E 00023C47
	v_add_u32_e32 v30, v4, v30                                 // 000000006770: 683C3D04
	v_add_u32_e32 v30, s60, v30                                // 000000006774: 683C3C3C
	v_lshrrev_b32_e32 v4, 24, v31                              // 000000006778: 20083E98
	v_mul_lo_u32 v4, s61, v4                                   // 00000000677C: D2850004 0002083D
	v_and_b32_e32 v31, 0xffffff, v31                           // 000000006784: 263E3EFF 00FFFFFF
	v_mul_lo_u32 v31, s71, v31                                 // 00000000678C: D285001F 00023E47
	v_add_u32_e32 v31, v4, v31                                 // 000000006794: 683E3F04
	v_add_u32_e32 v31, s60, v31                                // 000000006798: 683E3E3C
	v_lshrrev_b32_e32 v4, 24, v32                              // 00000000679C: 20084098
	v_mul_lo_u32 v4, s61, v4                                   // 0000000067A0: D2850004 0002083D
	v_and_b32_e32 v32, 0xffffff, v32                           // 0000000067A8: 264040FF 00FFFFFF
	v_mul_lo_u32 v32, s71, v32                                 // 0000000067B0: D2850020 00024047
	v_add_u32_e32 v32, v4, v32                                 // 0000000067B8: 68404104
	v_add_u32_e32 v32, s60, v32                                // 0000000067BC: 6840403C
	v_lshrrev_b32_e32 v4, 24, v33                              // 0000000067C0: 20084298
	v_mul_lo_u32 v4, s61, v4                                   // 0000000067C4: D2850004 0002083D
	v_and_b32_e32 v33, 0xffffff, v33                           // 0000000067CC: 264242FF 00FFFFFF
	v_mul_lo_u32 v33, s71, v33                                 // 0000000067D4: D2850021 00024247
	v_add_u32_e32 v33, v4, v33                                 // 0000000067DC: 68424304
	v_add_u32_e32 v33, s60, v33                                // 0000000067E0: 6842423C
	s_mov_b64 exec, 0xffff                                     // 0000000067E4: BEFE01FF 0000FFFF
	buffer_store_dword v116, v28, s[8:11], 0 offen             // 0000000067EC: E0701000 8002741C
	buffer_store_dword v117, v29, s[8:11], 0 offen             // 0000000067F4: E0701000 8002751D
	buffer_store_dword v118, v30, s[8:11], 0 offen             // 0000000067FC: E0701000 8002761E
	buffer_store_dword v119, v31, s[8:11], 0 offen             // 000000006804: E0701000 8002771F
	buffer_store_dword v120, v32, s[8:11], 0 offen             // 00000000680C: E0701000 80027820
	buffer_store_dword v121, v33, s[8:11], 0 offen             // 000000006814: E0701000 80027921
	s_mov_b64 exec, s[36:37]                                   // 00000000681C: BEFE0124
	s_branch label_282C                                        // 000000006820: BF8218A0

0000000000006824 <label_0F89>:
	ds_write_b64 v20, v[68:69]                                 // 000000006824: D89A0000 00004414
	ds_write_b64 v20, v[72:73] offset:4352                     // 00000000682C: D89A1100 00004814
	ds_write_b64 v20, v[76:77] offset:8704                     // 000000006834: D89A2200 00004C14
	ds_write_b64 v20, v[80:81] offset:13056                    // 00000000683C: D89A3300 00005014
	ds_write_b64 v20, v[84:85] offset:17408                    // 000000006844: D89A4400 00005414
	ds_write_b64 v20, v[88:89] offset:21760                    // 00000000684C: D89A5500 00005814
	ds_write_b64 v20, v[92:93] offset:2176                     // 000000006854: D89A0880 00005C14
	ds_write_b64 v20, v[96:97] offset:6528                     // 00000000685C: D89A1980 00006014
	ds_write_b64 v20, v[100:101] offset:10880                  // 000000006864: D89A2A80 00006414
	ds_write_b64 v20, v[104:105] offset:15232                  // 00000000686C: D89A3B80 00006814
	ds_write_b64 v20, v[108:109] offset:19584                  // 000000006874: D89A4C80 00006C14
	ds_write_b64 v20, v[112:113] offset:23936                  // 00000000687C: D89A5D80 00007014
	v_lshrrev_b32_e32 v4, 5, v0                                // 000000006884: 20080085
	v_xor_b32_e32 v5, 1, v4                                    // 000000006888: 2A0A0881
	s_mul_i32 s60, s65, 1                                      // 00000000688C: 923C8141
	s_cmp_eq_u32 s88, 0                                        // 000000006890: BF068058
	s_cselect_b32 s61, 1, 8                                    // 000000006894: 853D8881
	s_mul_i32 s60, s61, s60                                    // 000000006898: 923C3C3D
	v_readlane_b32 s82, v3, 0                                  // 00000000689C: D2890052 00010103
	s_lshr_b32 s61, s82, 24                                    // 0000000068A4: 8F3D9852
	s_and_b32 s82, s82, 0xffffff                               // 0000000068A8: 8652FF52 00FFFFFF
	s_mul_i32 s82, s82, s71                                    // 0000000068B0: 92524752
	s_mul_i32 s61, s60, s61                                    // 0000000068B4: 923D3D3C
	s_add_u32 s82, s82, s61                                    // 0000000068B8: 80523D52
	v_mul_lo_u32 v6, v5, s82                                   // 0000000068BC: D2850006 0000A505
	v_readlane_b32 s82, v3, 1                                  // 0000000068C4: D2890052 00010303
	s_lshr_b32 s61, s82, 24                                    // 0000000068CC: 8F3D9852
	s_and_b32 s82, s82, 0xffffff                               // 0000000068D0: 8652FF52 00FFFFFF
	s_mul_i32 s82, s82, s71                                    // 0000000068D8: 92524752
	s_mul_i32 s61, s60, s61                                    // 0000000068DC: 923D3D3C
	s_add_u32 s82, s82, s61                                    // 0000000068E0: 80523D52
	v_mul_lo_u32 v7, v4, s82                                   // 0000000068E4: D2850007 0000A504
	v_add_u32_e32 v52, v6, v7                                  // 0000000068EC: 68680F06
	v_readlane_b32 s82, v3, 2                                  // 0000000068F0: D2890052 00010503
	s_lshr_b32 s61, s82, 24                                    // 0000000068F8: 8F3D9852
	s_and_b32 s82, s82, 0xffffff                               // 0000000068FC: 8652FF52 00FFFFFF
	s_mul_i32 s82, s82, s71                                    // 000000006904: 92524752
	s_mul_i32 s61, s60, s61                                    // 000000006908: 923D3D3C
	s_add_u32 s82, s82, s61                                    // 00000000690C: 80523D52
	v_mul_lo_u32 v6, v5, s82                                   // 000000006910: D2850006 0000A505
	v_readlane_b32 s82, v3, 3                                  // 000000006918: D2890052 00010703
	s_lshr_b32 s61, s82, 24                                    // 000000006920: 8F3D9852
	s_and_b32 s82, s82, 0xffffff                               // 000000006924: 8652FF52 00FFFFFF
	s_mul_i32 s82, s82, s71                                    // 00000000692C: 92524752
	s_mul_i32 s61, s60, s61                                    // 000000006930: 923D3D3C
	s_add_u32 s82, s82, s61                                    // 000000006934: 80523D52
	v_mul_lo_u32 v7, v4, s82                                   // 000000006938: D2850007 0000A504
	v_add_u32_e32 v53, v6, v7                                  // 000000006940: 686A0F06
	v_readlane_b32 s82, v3, 4                                  // 000000006944: D2890052 00010903
	s_lshr_b32 s61, s82, 24                                    // 00000000694C: 8F3D9852
	s_and_b32 s82, s82, 0xffffff                               // 000000006950: 8652FF52 00FFFFFF
	s_mul_i32 s82, s82, s71                                    // 000000006958: 92524752
	s_mul_i32 s61, s60, s61                                    // 00000000695C: 923D3D3C
	s_add_u32 s82, s82, s61                                    // 000000006960: 80523D52
	v_mul_lo_u32 v6, v5, s82                                   // 000000006964: D2850006 0000A505
	v_readlane_b32 s82, v3, 5                                  // 00000000696C: D2890052 00010B03
	s_lshr_b32 s61, s82, 24                                    // 000000006974: 8F3D9852
	s_and_b32 s82, s82, 0xffffff                               // 000000006978: 8652FF52 00FFFFFF
	s_mul_i32 s82, s82, s71                                    // 000000006980: 92524752
	s_mul_i32 s61, s60, s61                                    // 000000006984: 923D3D3C
	s_add_u32 s82, s82, s61                                    // 000000006988: 80523D52
	v_mul_lo_u32 v7, v4, s82                                   // 00000000698C: D2850007 0000A504
	v_add_u32_e32 v54, v6, v7                                  // 000000006994: 686C0F06
	v_readlane_b32 s82, v3, 6                                  // 000000006998: D2890052 00010D03
	s_lshr_b32 s61, s82, 24                                    // 0000000069A0: 8F3D9852
	s_and_b32 s82, s82, 0xffffff                               // 0000000069A4: 8652FF52 00FFFFFF
	s_mul_i32 s82, s82, s71                                    // 0000000069AC: 92524752
	s_mul_i32 s61, s60, s61                                    // 0000000069B0: 923D3D3C
	s_add_u32 s82, s82, s61                                    // 0000000069B4: 80523D52
	v_mul_lo_u32 v6, v5, s82                                   // 0000000069B8: D2850006 0000A505
	v_readlane_b32 s82, v3, 7                                  // 0000000069C0: D2890052 00010F03
	s_lshr_b32 s61, s82, 24                                    // 0000000069C8: 8F3D9852
	s_and_b32 s82, s82, 0xffffff                               // 0000000069CC: 8652FF52 00FFFFFF
	s_mul_i32 s82, s82, s71                                    // 0000000069D4: 92524752
	s_mul_i32 s61, s60, s61                                    // 0000000069D8: 923D3D3C
	s_add_u32 s82, s82, s61                                    // 0000000069DC: 80523D52
	v_mul_lo_u32 v7, v4, s82                                   // 0000000069E0: D2850007 0000A504
	v_add_u32_e32 v55, v6, v7                                  // 0000000069E8: 686E0F06
	v_readlane_b32 s82, v3, 8                                  // 0000000069EC: D2890052 00011103
	s_lshr_b32 s61, s82, 24                                    // 0000000069F4: 8F3D9852
	s_and_b32 s82, s82, 0xffffff                               // 0000000069F8: 8652FF52 00FFFFFF
	s_mul_i32 s82, s82, s71                                    // 000000006A00: 92524752
	s_mul_i32 s61, s60, s61                                    // 000000006A04: 923D3D3C
	s_add_u32 s82, s82, s61                                    // 000000006A08: 80523D52
	v_mul_lo_u32 v6, v5, s82                                   // 000000006A0C: D2850006 0000A505
	v_readlane_b32 s82, v3, 9                                  // 000000006A14: D2890052 00011303
	s_lshr_b32 s61, s82, 24                                    // 000000006A1C: 8F3D9852
	s_and_b32 s82, s82, 0xffffff                               // 000000006A20: 8652FF52 00FFFFFF
	s_mul_i32 s82, s82, s71                                    // 000000006A28: 92524752
	s_mul_i32 s61, s60, s61                                    // 000000006A2C: 923D3D3C
	s_add_u32 s82, s82, s61                                    // 000000006A30: 80523D52
	v_mul_lo_u32 v7, v4, s82                                   // 000000006A34: D2850007 0000A504
	v_add_u32_e32 v56, v6, v7                                  // 000000006A3C: 68700F06
	v_readlane_b32 s82, v3, 10                                 // 000000006A40: D2890052 00011503
	s_lshr_b32 s61, s82, 24                                    // 000000006A48: 8F3D9852
	s_and_b32 s82, s82, 0xffffff                               // 000000006A4C: 8652FF52 00FFFFFF
	s_mul_i32 s82, s82, s71                                    // 000000006A54: 92524752
	s_mul_i32 s61, s60, s61                                    // 000000006A58: 923D3D3C
	s_add_u32 s82, s82, s61                                    // 000000006A5C: 80523D52
	v_mul_lo_u32 v6, v5, s82                                   // 000000006A60: D2850006 0000A505
	v_readlane_b32 s82, v3, 11                                 // 000000006A68: D2890052 00011703
	s_lshr_b32 s61, s82, 24                                    // 000000006A70: 8F3D9852
	s_and_b32 s82, s82, 0xffffff                               // 000000006A74: 8652FF52 00FFFFFF
	s_mul_i32 s82, s82, s71                                    // 000000006A7C: 92524752
	s_mul_i32 s61, s60, s61                                    // 000000006A80: 923D3D3C
	s_add_u32 s82, s82, s61                                    // 000000006A84: 80523D52
	v_mul_lo_u32 v7, v4, s82                                   // 000000006A88: D2850007 0000A504
	v_add_u32_e32 v57, v6, v7                                  // 000000006A90: 68720F06
	v_readlane_b32 s82, v3, 12                                 // 000000006A94: D2890052 00011903
	s_lshr_b32 s61, s82, 24                                    // 000000006A9C: 8F3D9852
	s_and_b32 s82, s82, 0xffffff                               // 000000006AA0: 8652FF52 00FFFFFF
	s_mul_i32 s82, s82, s71                                    // 000000006AA8: 92524752
	s_mul_i32 s61, s60, s61                                    // 000000006AAC: 923D3D3C
	s_add_u32 s82, s82, s61                                    // 000000006AB0: 80523D52
	v_mul_lo_u32 v6, v5, s82                                   // 000000006AB4: D2850006 0000A505
	v_readlane_b32 s82, v3, 13                                 // 000000006ABC: D2890052 00011B03
	s_lshr_b32 s61, s82, 24                                    // 000000006AC4: 8F3D9852
	s_and_b32 s82, s82, 0xffffff                               // 000000006AC8: 8652FF52 00FFFFFF
	s_mul_i32 s82, s82, s71                                    // 000000006AD0: 92524752
	s_mul_i32 s61, s60, s61                                    // 000000006AD4: 923D3D3C
	s_add_u32 s82, s82, s61                                    // 000000006AD8: 80523D52
	v_mul_lo_u32 v7, v4, s82                                   // 000000006ADC: D2850007 0000A504
	v_add_u32_e32 v58, v6, v7                                  // 000000006AE4: 68740F06
	v_readlane_b32 s82, v3, 14                                 // 000000006AE8: D2890052 00011D03
	s_lshr_b32 s61, s82, 24                                    // 000000006AF0: 8F3D9852
	s_and_b32 s82, s82, 0xffffff                               // 000000006AF4: 8652FF52 00FFFFFF
	s_mul_i32 s82, s82, s71                                    // 000000006AFC: 92524752
	s_mul_i32 s61, s60, s61                                    // 000000006B00: 923D3D3C
	s_add_u32 s82, s82, s61                                    // 000000006B04: 80523D52
	v_mul_lo_u32 v6, v5, s82                                   // 000000006B08: D2850006 0000A505
	v_readlane_b32 s82, v3, 15                                 // 000000006B10: D2890052 00011F03
	s_lshr_b32 s61, s82, 24                                    // 000000006B18: 8F3D9852
	s_and_b32 s82, s82, 0xffffff                               // 000000006B1C: 8652FF52 00FFFFFF
	s_mul_i32 s82, s82, s71                                    // 000000006B24: 92524752
	s_mul_i32 s61, s60, s61                                    // 000000006B28: 923D3D3C
	s_add_u32 s82, s82, s61                                    // 000000006B2C: 80523D52
	v_mul_lo_u32 v7, v4, s82                                   // 000000006B30: D2850007 0000A504
	v_add_u32_e32 v59, v6, v7                                  // 000000006B38: 68760F06
	v_readlane_b32 s82, v3, 16                                 // 000000006B3C: D2890052 00012103
	s_lshr_b32 s61, s82, 24                                    // 000000006B44: 8F3D9852
	s_and_b32 s82, s82, 0xffffff                               // 000000006B48: 8652FF52 00FFFFFF
	s_mul_i32 s82, s82, s71                                    // 000000006B50: 92524752
	s_mul_i32 s61, s60, s61                                    // 000000006B54: 923D3D3C
	s_add_u32 s82, s82, s61                                    // 000000006B58: 80523D52
	v_mul_lo_u32 v6, v5, s82                                   // 000000006B5C: D2850006 0000A505
	v_readlane_b32 s82, v3, 17                                 // 000000006B64: D2890052 00012303
	s_lshr_b32 s61, s82, 24                                    // 000000006B6C: 8F3D9852
	s_and_b32 s82, s82, 0xffffff                               // 000000006B70: 8652FF52 00FFFFFF
	s_mul_i32 s82, s82, s71                                    // 000000006B78: 92524752
	s_mul_i32 s61, s60, s61                                    // 000000006B7C: 923D3D3C
	s_add_u32 s82, s82, s61                                    // 000000006B80: 80523D52
	v_mul_lo_u32 v7, v4, s82                                   // 000000006B84: D2850007 0000A504
	v_add_u32_e32 v60, v6, v7                                  // 000000006B8C: 68780F06
	v_readlane_b32 s82, v3, 18                                 // 000000006B90: D2890052 00012503
	s_lshr_b32 s61, s82, 24                                    // 000000006B98: 8F3D9852
	s_and_b32 s82, s82, 0xffffff                               // 000000006B9C: 8652FF52 00FFFFFF
	s_mul_i32 s82, s82, s71                                    // 000000006BA4: 92524752
	s_mul_i32 s61, s60, s61                                    // 000000006BA8: 923D3D3C
	s_add_u32 s82, s82, s61                                    // 000000006BAC: 80523D52
	v_mul_lo_u32 v6, v5, s82                                   // 000000006BB0: D2850006 0000A505
	v_readlane_b32 s82, v3, 19                                 // 000000006BB8: D2890052 00012703
	s_lshr_b32 s61, s82, 24                                    // 000000006BC0: 8F3D9852
	s_and_b32 s82, s82, 0xffffff                               // 000000006BC4: 8652FF52 00FFFFFF
	s_mul_i32 s82, s82, s71                                    // 000000006BCC: 92524752
	s_mul_i32 s61, s60, s61                                    // 000000006BD0: 923D3D3C
	s_add_u32 s82, s82, s61                                    // 000000006BD4: 80523D52
	v_mul_lo_u32 v7, v4, s82                                   // 000000006BD8: D2850007 0000A504
	v_add_u32_e32 v61, v6, v7                                  // 000000006BE0: 687A0F06
	v_readlane_b32 s82, v3, 20                                 // 000000006BE4: D2890052 00012903
	s_lshr_b32 s61, s82, 24                                    // 000000006BEC: 8F3D9852
	s_and_b32 s82, s82, 0xffffff                               // 000000006BF0: 8652FF52 00FFFFFF
	s_mul_i32 s82, s82, s71                                    // 000000006BF8: 92524752
	s_mul_i32 s61, s60, s61                                    // 000000006BFC: 923D3D3C
	s_add_u32 s82, s82, s61                                    // 000000006C00: 80523D52
	v_mul_lo_u32 v6, v5, s82                                   // 000000006C04: D2850006 0000A505
	v_readlane_b32 s82, v3, 21                                 // 000000006C0C: D2890052 00012B03
	s_lshr_b32 s61, s82, 24                                    // 000000006C14: 8F3D9852
	s_and_b32 s82, s82, 0xffffff                               // 000000006C18: 8652FF52 00FFFFFF
	s_mul_i32 s82, s82, s71                                    // 000000006C20: 92524752
	s_mul_i32 s61, s60, s61                                    // 000000006C24: 923D3D3C
	s_add_u32 s82, s82, s61                                    // 000000006C28: 80523D52
	v_mul_lo_u32 v7, v4, s82                                   // 000000006C2C: D2850007 0000A504
	v_add_u32_e32 v62, v6, v7                                  // 000000006C34: 687C0F06
	v_readlane_b32 s82, v3, 22                                 // 000000006C38: D2890052 00012D03
	s_lshr_b32 s61, s82, 24                                    // 000000006C40: 8F3D9852
	s_and_b32 s82, s82, 0xffffff                               // 000000006C44: 8652FF52 00FFFFFF
	s_mul_i32 s82, s82, s71                                    // 000000006C4C: 92524752
	s_mul_i32 s61, s60, s61                                    // 000000006C50: 923D3D3C
	s_add_u32 s82, s82, s61                                    // 000000006C54: 80523D52
	v_mul_lo_u32 v6, v5, s82                                   // 000000006C58: D2850006 0000A505
	v_readlane_b32 s82, v3, 23                                 // 000000006C60: D2890052 00012F03
	s_lshr_b32 s61, s82, 24                                    // 000000006C68: 8F3D9852
	s_and_b32 s82, s82, 0xffffff                               // 000000006C6C: 8652FF52 00FFFFFF
	s_mul_i32 s82, s82, s71                                    // 000000006C74: 92524752
	s_mul_i32 s61, s60, s61                                    // 000000006C78: 923D3D3C
	s_add_u32 s82, s82, s61                                    // 000000006C7C: 80523D52
	v_mul_lo_u32 v7, v4, s82                                   // 000000006C80: D2850007 0000A504
	v_add_u32_e32 v63, v6, v7                                  // 000000006C88: 687E0F06
	v_and_b32_e32 v4, 31, v0                                   // 000000006C8C: 2608009F
	v_lshrrev_b32_e32 v4, 1, v4                                // 000000006C90: 20080881
	s_cmp_eq_u32 s88, 0                                        // 000000006C94: BF068058
	s_cselect_b32 s61, 2, 4                                    // 000000006C98: 853D8482
	v_mul_lo_u32 v4, v4, s61                                   // 000000006C9C: D2850004 00007B04
	v_and_b32_e64 v5, v0, 1                                    // 000000006CA4: D1130005 00010300
	v_add_u32_e32 v4, v4, v5                                   // 000000006CAC: 68080B04
	v_lshlrev_b32_e32 v4, 2, v4                                // 000000006CB0: 24080882
	v_add_u32_e32 v52, v52, v4                                 // 000000006CB4: 68680934
	v_add_u32_e32 v53, v53, v4                                 // 000000006CB8: 686A0935
	v_add_u32_e32 v54, v54, v4                                 // 000000006CBC: 686C0936
	v_add_u32_e32 v55, v55, v4                                 // 000000006CC0: 686E0937
	v_add_u32_e32 v56, v56, v4                                 // 000000006CC4: 68700938
	v_add_u32_e32 v57, v57, v4                                 // 000000006CC8: 68720939
	v_add_u32_e32 v58, v58, v4                                 // 000000006CCC: 6874093A
	v_add_u32_e32 v59, v59, v4                                 // 000000006CD0: 6876093B
	v_add_u32_e32 v60, v60, v4                                 // 000000006CD4: 6878093C
	v_add_u32_e32 v61, v61, v4                                 // 000000006CD8: 687A093D
	v_add_u32_e32 v62, v62, v4                                 // 000000006CDC: 687C093E
	v_add_u32_e32 v63, v63, v4                                 // 000000006CE0: 687E093F
	s_waitcnt lgkmcnt(0)                                       // 000000006CE4: BF8CC07F
	s_barrier                                                  // 000000006CE8: BF8A0000
	ds_read_b32 v68, v21                                       // 000000006CEC: D86C0000 44000015
	ds_read_b32 v69, v21 offset:64                             // 000000006CF4: D86C0040 45000015
	ds_read_b32 v72, v21 offset:2176                           // 000000006CFC: D86C0880 48000015
	ds_read_b32 v73, v21 offset:2240                           // 000000006D04: D86C08C0 49000015
	ds_read_b32 v76, v21 offset:4352                           // 000000006D0C: D86C1100 4C000015
	ds_read_b32 v77, v21 offset:4416                           // 000000006D14: D86C1140 4D000015
	ds_read_b32 v80, v21 offset:6528                           // 000000006D1C: D86C1980 50000015
	ds_read_b32 v81, v21 offset:6592                           // 000000006D24: D86C19C0 51000015
	ds_read_b32 v84, v21 offset:8704                           // 000000006D2C: D86C2200 54000015
	ds_read_b32 v85, v21 offset:8768                           // 000000006D34: D86C2240 55000015
	ds_read_b32 v88, v21 offset:10880                          // 000000006D3C: D86C2A80 58000015
	ds_read_b32 v89, v21 offset:10944                          // 000000006D44: D86C2AC0 59000015
	ds_read_b32 v92, v21 offset:13056                          // 000000006D4C: D86C3300 5C000015
	ds_read_b32 v93, v21 offset:13120                          // 000000006D54: D86C3340 5D000015
	ds_read_b32 v96, v21 offset:15232                          // 000000006D5C: D86C3B80 60000015
	ds_read_b32 v97, v21 offset:15296                          // 000000006D64: D86C3BC0 61000015
	ds_read_b32 v100, v21 offset:17408                         // 000000006D6C: D86C4400 64000015
	ds_read_b32 v101, v21 offset:17472                         // 000000006D74: D86C4440 65000015
	ds_read_b32 v104, v21 offset:19584                         // 000000006D7C: D86C4C80 68000015
	ds_read_b32 v105, v21 offset:19648                         // 000000006D84: D86C4CC0 69000015
	ds_read_b32 v108, v21 offset:21760                         // 000000006D8C: D86C5500 6C000015
	ds_read_b32 v109, v21 offset:21824                         // 000000006D94: D86C5540 6D000015
	ds_read_b32 v112, v21 offset:23936                         // 000000006D9C: D86C5D80 70000015
	ds_read_b32 v113, v21 offset:24000                         // 000000006DA4: D86C5DC0 71000015
	s_waitcnt lgkmcnt(0)                                       // 000000006DAC: BF8CC07F
	s_mov_b32 s36, -1                                          // 000000006DB0: BEA400C1
	s_mov_b32 s37, -1                                          // 000000006DB4: BEA500C1
	v_mov_b32_e32 v7, 0                                        // 000000006DB8: 7E0E0280
	s_mov_b64 exec, s[36:37]                                   // 000000006DBC: BEFE0124
	v_mov_b32_e32 v6, v52                                      // 000000006DC0: 7E0C0334
	s_mov_b64 s[60:61], 0                                      // 000000006DC4: BEBC0180
	v_readlane_b32 s82, v3, 0                                  // 000000006DC8: D2890052 00010103
	s_and_b32 s82, s82, 0xffffff                               // 000000006DD0: 8652FF52 00FFFFFF
	s_cmp_lt_u32 s82, s66                                      // 000000006DD8: BF0A4252
	s_cselect_b32 s20, s36, s60                                // 000000006DDC: 85143C24
	v_readlane_b32 s82, v3, 1                                  // 000000006DE0: D2890052 00010303
	s_and_b32 s82, s82, 0xffffff                               // 000000006DE8: 8652FF52 00FFFFFF
	s_cmp_lt_u32 s82, s66                                      // 000000006DF0: BF0A4252
	s_cselect_b32 s21, s36, s60                                // 000000006DF4: 85153C24
	s_mov_b64 exec, s[20:21]                                   // 000000006DF8: BEFE0114
	global_atomic_add_f32 v6, v68, s[8:9]                      // 000000006DFC: DD348000 00084406
	global_atomic_add_f32 v6, v72, s[8:9] offset:256           // 000000006E04: DD348100 00084806
	s_mov_b64 exec, s[36:37]                                   // 000000006E0C: BEFE0124
	v_mov_b32_e32 v6, v53                                      // 000000006E10: 7E0C0335
	s_mov_b64 s[60:61], 0                                      // 000000006E14: BEBC0180
	v_readlane_b32 s82, v3, 2                                  // 000000006E18: D2890052 00010503
	s_and_b32 s82, s82, 0xffffff                               // 000000006E20: 8652FF52 00FFFFFF
	s_cmp_lt_u32 s82, s66                                      // 000000006E28: BF0A4252
	s_cselect_b32 s20, s36, s60                                // 000000006E2C: 85143C24
	v_readlane_b32 s82, v3, 3                                  // 000000006E30: D2890052 00010703
	s_and_b32 s82, s82, 0xffffff                               // 000000006E38: 8652FF52 00FFFFFF
	s_cmp_lt_u32 s82, s66                                      // 000000006E40: BF0A4252
	s_cselect_b32 s21, s36, s60                                // 000000006E44: 85153C24
	s_mov_b64 exec, s[20:21]                                   // 000000006E48: BEFE0114
	global_atomic_add_f32 v6, v69, s[8:9]                      // 000000006E4C: DD348000 00084506
	global_atomic_add_f32 v6, v73, s[8:9] offset:256           // 000000006E54: DD348100 00084906
	s_mov_b64 exec, s[36:37]                                   // 000000006E5C: BEFE0124
	v_mov_b32_e32 v6, v54                                      // 000000006E60: 7E0C0336
	s_mov_b64 s[60:61], 0                                      // 000000006E64: BEBC0180
	v_readlane_b32 s82, v3, 4                                  // 000000006E68: D2890052 00010903
	s_and_b32 s82, s82, 0xffffff                               // 000000006E70: 8652FF52 00FFFFFF
	s_cmp_lt_u32 s82, s66                                      // 000000006E78: BF0A4252
	s_cselect_b32 s20, s36, s60                                // 000000006E7C: 85143C24
	v_readlane_b32 s82, v3, 5                                  // 000000006E80: D2890052 00010B03
	s_and_b32 s82, s82, 0xffffff                               // 000000006E88: 8652FF52 00FFFFFF
	s_cmp_lt_u32 s82, s66                                      // 000000006E90: BF0A4252
	s_cselect_b32 s21, s36, s60                                // 000000006E94: 85153C24
	s_mov_b64 exec, s[20:21]                                   // 000000006E98: BEFE0114
	global_atomic_add_f32 v6, v76, s[8:9]                      // 000000006E9C: DD348000 00084C06
	global_atomic_add_f32 v6, v80, s[8:9] offset:256           // 000000006EA4: DD348100 00085006
	s_mov_b64 exec, s[36:37]                                   // 000000006EAC: BEFE0124
	v_mov_b32_e32 v6, v55                                      // 000000006EB0: 7E0C0337
	s_mov_b64 s[60:61], 0                                      // 000000006EB4: BEBC0180
	v_readlane_b32 s82, v3, 6                                  // 000000006EB8: D2890052 00010D03
	s_and_b32 s82, s82, 0xffffff                               // 000000006EC0: 8652FF52 00FFFFFF
	s_cmp_lt_u32 s82, s66                                      // 000000006EC8: BF0A4252
	s_cselect_b32 s20, s36, s60                                // 000000006ECC: 85143C24
	v_readlane_b32 s82, v3, 7                                  // 000000006ED0: D2890052 00010F03
	s_and_b32 s82, s82, 0xffffff                               // 000000006ED8: 8652FF52 00FFFFFF
	s_cmp_lt_u32 s82, s66                                      // 000000006EE0: BF0A4252
	s_cselect_b32 s21, s36, s60                                // 000000006EE4: 85153C24
	s_mov_b64 exec, s[20:21]                                   // 000000006EE8: BEFE0114
	global_atomic_add_f32 v6, v77, s[8:9]                      // 000000006EEC: DD348000 00084D06
	global_atomic_add_f32 v6, v81, s[8:9] offset:256           // 000000006EF4: DD348100 00085106
	s_mov_b64 exec, s[36:37]                                   // 000000006EFC: BEFE0124
	v_mov_b32_e32 v6, v56                                      // 000000006F00: 7E0C0338
	s_mov_b64 s[60:61], 0                                      // 000000006F04: BEBC0180
	v_readlane_b32 s82, v3, 8                                  // 000000006F08: D2890052 00011103
	s_and_b32 s82, s82, 0xffffff                               // 000000006F10: 8652FF52 00FFFFFF
	s_cmp_lt_u32 s82, s66                                      // 000000006F18: BF0A4252
	s_cselect_b32 s20, s36, s60                                // 000000006F1C: 85143C24
	v_readlane_b32 s82, v3, 9                                  // 000000006F20: D2890052 00011303
	s_and_b32 s82, s82, 0xffffff                               // 000000006F28: 8652FF52 00FFFFFF
	s_cmp_lt_u32 s82, s66                                      // 000000006F30: BF0A4252
	s_cselect_b32 s21, s36, s60                                // 000000006F34: 85153C24
	s_mov_b64 exec, s[20:21]                                   // 000000006F38: BEFE0114
	global_atomic_add_f32 v6, v84, s[8:9]                      // 000000006F3C: DD348000 00085406
	global_atomic_add_f32 v6, v88, s[8:9] offset:256           // 000000006F44: DD348100 00085806
	s_mov_b64 exec, s[36:37]                                   // 000000006F4C: BEFE0124
	v_mov_b32_e32 v6, v57                                      // 000000006F50: 7E0C0339
	s_mov_b64 s[60:61], 0                                      // 000000006F54: BEBC0180
	v_readlane_b32 s82, v3, 10                                 // 000000006F58: D2890052 00011503
	s_and_b32 s82, s82, 0xffffff                               // 000000006F60: 8652FF52 00FFFFFF
	s_cmp_lt_u32 s82, s66                                      // 000000006F68: BF0A4252
	s_cselect_b32 s20, s36, s60                                // 000000006F6C: 85143C24
	v_readlane_b32 s82, v3, 11                                 // 000000006F70: D2890052 00011703
	s_and_b32 s82, s82, 0xffffff                               // 000000006F78: 8652FF52 00FFFFFF
	s_cmp_lt_u32 s82, s66                                      // 000000006F80: BF0A4252
	s_cselect_b32 s21, s36, s60                                // 000000006F84: 85153C24
	s_mov_b64 exec, s[20:21]                                   // 000000006F88: BEFE0114
	global_atomic_add_f32 v6, v85, s[8:9]                      // 000000006F8C: DD348000 00085506
	global_atomic_add_f32 v6, v89, s[8:9] offset:256           // 000000006F94: DD348100 00085906
	s_mov_b64 exec, s[36:37]                                   // 000000006F9C: BEFE0124
	v_mov_b32_e32 v6, v58                                      // 000000006FA0: 7E0C033A
	s_mov_b64 s[60:61], 0                                      // 000000006FA4: BEBC0180
	v_readlane_b32 s82, v3, 12                                 // 000000006FA8: D2890052 00011903
	s_and_b32 s82, s82, 0xffffff                               // 000000006FB0: 8652FF52 00FFFFFF
	s_cmp_lt_u32 s82, s66                                      // 000000006FB8: BF0A4252
	s_cselect_b32 s20, s36, s60                                // 000000006FBC: 85143C24
	v_readlane_b32 s82, v3, 13                                 // 000000006FC0: D2890052 00011B03
	s_and_b32 s82, s82, 0xffffff                               // 000000006FC8: 8652FF52 00FFFFFF
	s_cmp_lt_u32 s82, s66                                      // 000000006FD0: BF0A4252
	s_cselect_b32 s21, s36, s60                                // 000000006FD4: 85153C24
	s_mov_b64 exec, s[20:21]                                   // 000000006FD8: BEFE0114
	global_atomic_add_f32 v6, v92, s[8:9]                      // 000000006FDC: DD348000 00085C06
	global_atomic_add_f32 v6, v96, s[8:9] offset:256           // 000000006FE4: DD348100 00086006
	s_mov_b64 exec, s[36:37]                                   // 000000006FEC: BEFE0124
	v_mov_b32_e32 v6, v59                                      // 000000006FF0: 7E0C033B
	s_mov_b64 s[60:61], 0                                      // 000000006FF4: BEBC0180
	v_readlane_b32 s82, v3, 14                                 // 000000006FF8: D2890052 00011D03
	s_and_b32 s82, s82, 0xffffff                               // 000000007000: 8652FF52 00FFFFFF
	s_cmp_lt_u32 s82, s66                                      // 000000007008: BF0A4252
	s_cselect_b32 s20, s36, s60                                // 00000000700C: 85143C24
	v_readlane_b32 s82, v3, 15                                 // 000000007010: D2890052 00011F03
	s_and_b32 s82, s82, 0xffffff                               // 000000007018: 8652FF52 00FFFFFF
	s_cmp_lt_u32 s82, s66                                      // 000000007020: BF0A4252
	s_cselect_b32 s21, s36, s60                                // 000000007024: 85153C24
	s_mov_b64 exec, s[20:21]                                   // 000000007028: BEFE0114
	global_atomic_add_f32 v6, v93, s[8:9]                      // 00000000702C: DD348000 00085D06
	global_atomic_add_f32 v6, v97, s[8:9] offset:256           // 000000007034: DD348100 00086106
	s_mov_b64 exec, s[36:37]                                   // 00000000703C: BEFE0124
	v_mov_b32_e32 v6, v60                                      // 000000007040: 7E0C033C
	s_mov_b64 s[60:61], 0                                      // 000000007044: BEBC0180
	v_readlane_b32 s82, v3, 16                                 // 000000007048: D2890052 00012103
	s_and_b32 s82, s82, 0xffffff                               // 000000007050: 8652FF52 00FFFFFF
	s_cmp_lt_u32 s82, s66                                      // 000000007058: BF0A4252
	s_cselect_b32 s20, s36, s60                                // 00000000705C: 85143C24
	v_readlane_b32 s82, v3, 17                                 // 000000007060: D2890052 00012303
	s_and_b32 s82, s82, 0xffffff                               // 000000007068: 8652FF52 00FFFFFF
	s_cmp_lt_u32 s82, s66                                      // 000000007070: BF0A4252
	s_cselect_b32 s21, s36, s60                                // 000000007074: 85153C24
	s_mov_b64 exec, s[20:21]                                   // 000000007078: BEFE0114
	global_atomic_add_f32 v6, v100, s[8:9]                     // 00000000707C: DD348000 00086406
	global_atomic_add_f32 v6, v104, s[8:9] offset:256          // 000000007084: DD348100 00086806
	s_mov_b64 exec, s[36:37]                                   // 00000000708C: BEFE0124
	v_mov_b32_e32 v6, v61                                      // 000000007090: 7E0C033D
	s_mov_b64 s[60:61], 0                                      // 000000007094: BEBC0180
	v_readlane_b32 s82, v3, 18                                 // 000000007098: D2890052 00012503
	s_and_b32 s82, s82, 0xffffff                               // 0000000070A0: 8652FF52 00FFFFFF
	s_cmp_lt_u32 s82, s66                                      // 0000000070A8: BF0A4252
	s_cselect_b32 s20, s36, s60                                // 0000000070AC: 85143C24
	v_readlane_b32 s82, v3, 19                                 // 0000000070B0: D2890052 00012703
	s_and_b32 s82, s82, 0xffffff                               // 0000000070B8: 8652FF52 00FFFFFF
	s_cmp_lt_u32 s82, s66                                      // 0000000070C0: BF0A4252
	s_cselect_b32 s21, s36, s60                                // 0000000070C4: 85153C24
	s_mov_b64 exec, s[20:21]                                   // 0000000070C8: BEFE0114
	global_atomic_add_f32 v6, v101, s[8:9]                     // 0000000070CC: DD348000 00086506
	global_atomic_add_f32 v6, v105, s[8:9] offset:256          // 0000000070D4: DD348100 00086906
	s_mov_b64 exec, s[36:37]                                   // 0000000070DC: BEFE0124
	v_mov_b32_e32 v6, v62                                      // 0000000070E0: 7E0C033E
	s_mov_b64 s[60:61], 0                                      // 0000000070E4: BEBC0180
	v_readlane_b32 s82, v3, 20                                 // 0000000070E8: D2890052 00012903
	s_and_b32 s82, s82, 0xffffff                               // 0000000070F0: 8652FF52 00FFFFFF
	s_cmp_lt_u32 s82, s66                                      // 0000000070F8: BF0A4252
	s_cselect_b32 s20, s36, s60                                // 0000000070FC: 85143C24
	v_readlane_b32 s82, v3, 21                                 // 000000007100: D2890052 00012B03
	s_and_b32 s82, s82, 0xffffff                               // 000000007108: 8652FF52 00FFFFFF
	s_cmp_lt_u32 s82, s66                                      // 000000007110: BF0A4252
	s_cselect_b32 s21, s36, s60                                // 000000007114: 85153C24
	s_mov_b64 exec, s[20:21]                                   // 000000007118: BEFE0114
	global_atomic_add_f32 v6, v108, s[8:9]                     // 00000000711C: DD348000 00086C06
	global_atomic_add_f32 v6, v112, s[8:9] offset:256          // 000000007124: DD348100 00087006
	s_mov_b64 exec, s[36:37]                                   // 00000000712C: BEFE0124
	v_mov_b32_e32 v6, v63                                      // 000000007130: 7E0C033F
	s_mov_b64 s[60:61], 0                                      // 000000007134: BEBC0180
	v_readlane_b32 s82, v3, 22                                 // 000000007138: D2890052 00012D03
	s_and_b32 s82, s82, 0xffffff                               // 000000007140: 8652FF52 00FFFFFF
	s_cmp_lt_u32 s82, s66                                      // 000000007148: BF0A4252
	s_cselect_b32 s20, s36, s60                                // 00000000714C: 85143C24
	v_readlane_b32 s82, v3, 23                                 // 000000007150: D2890052 00012F03
	s_and_b32 s82, s82, 0xffffff                               // 000000007158: 8652FF52 00FFFFFF
	s_cmp_lt_u32 s82, s66                                      // 000000007160: BF0A4252
	s_cselect_b32 s21, s36, s60                                // 000000007164: 85153C24
	s_mov_b64 exec, s[20:21]                                   // 000000007168: BEFE0114
	global_atomic_add_f32 v6, v109, s[8:9]                     // 00000000716C: DD348000 00086D06
	global_atomic_add_f32 v6, v113, s[8:9] offset:256          // 000000007174: DD348100 00087106
	s_mov_b64 exec, s[36:37]                                   // 00000000717C: BEFE0124
	ds_write_b64 v20, v[70:71]                                 // 000000007180: D89A0000 00004614
	ds_write_b64 v20, v[74:75] offset:4352                     // 000000007188: D89A1100 00004A14
	ds_write_b64 v20, v[78:79] offset:8704                     // 000000007190: D89A2200 00004E14
	ds_write_b64 v20, v[82:83] offset:13056                    // 000000007198: D89A3300 00005214
	ds_write_b64 v20, v[86:87] offset:17408                    // 0000000071A0: D89A4400 00005614
	ds_write_b64 v20, v[90:91] offset:21760                    // 0000000071A8: D89A5500 00005A14
	ds_write_b64 v20, v[94:95] offset:2176                     // 0000000071B0: D89A0880 00005E14
	ds_write_b64 v20, v[98:99] offset:6528                     // 0000000071B8: D89A1980 00006214
	ds_write_b64 v20, v[102:103] offset:10880                  // 0000000071C0: D89A2A80 00006614
	ds_write_b64 v20, v[106:107] offset:15232                  // 0000000071C8: D89A3B80 00006A14
	ds_write_b64 v20, v[110:111] offset:19584                  // 0000000071D0: D89A4C80 00006E14
	ds_write_b64 v20, v[114:115] offset:23936                  // 0000000071D8: D89A5D80 00007214
	s_waitcnt lgkmcnt(0)                                       // 0000000071E0: BF8CC07F
	s_barrier                                                  // 0000000071E4: BF8A0000
	ds_read_b32 v70, v21                                       // 0000000071E8: D86C0000 46000015
	ds_read_b32 v71, v21 offset:64                             // 0000000071F0: D86C0040 47000015
	ds_read_b32 v74, v21 offset:2176                           // 0000000071F8: D86C0880 4A000015
	ds_read_b32 v75, v21 offset:2240                           // 000000007200: D86C08C0 4B000015
	ds_read_b32 v78, v21 offset:4352                           // 000000007208: D86C1100 4E000015
	ds_read_b32 v79, v21 offset:4416                           // 000000007210: D86C1140 4F000015
	ds_read_b32 v82, v21 offset:6528                           // 000000007218: D86C1980 52000015
	ds_read_b32 v83, v21 offset:6592                           // 000000007220: D86C19C0 53000015
	ds_read_b32 v86, v21 offset:8704                           // 000000007228: D86C2200 56000015
	ds_read_b32 v87, v21 offset:8768                           // 000000007230: D86C2240 57000015
	ds_read_b32 v90, v21 offset:10880                          // 000000007238: D86C2A80 5A000015
	ds_read_b32 v91, v21 offset:10944                          // 000000007240: D86C2AC0 5B000015
	ds_read_b32 v94, v21 offset:13056                          // 000000007248: D86C3300 5E000015
	ds_read_b32 v95, v21 offset:13120                          // 000000007250: D86C3340 5F000015
	ds_read_b32 v98, v21 offset:15232                          // 000000007258: D86C3B80 62000015
	ds_read_b32 v99, v21 offset:15296                          // 000000007260: D86C3BC0 63000015
	ds_read_b32 v102, v21 offset:17408                         // 000000007268: D86C4400 66000015
	ds_read_b32 v103, v21 offset:17472                         // 000000007270: D86C4440 67000015
	ds_read_b32 v106, v21 offset:19584                         // 000000007278: D86C4C80 6A000015
	ds_read_b32 v107, v21 offset:19648                         // 000000007280: D86C4CC0 6B000015
	ds_read_b32 v110, v21 offset:21760                         // 000000007288: D86C5500 6E000015
	ds_read_b32 v111, v21 offset:21824                         // 000000007290: D86C5540 6F000015
	ds_read_b32 v114, v21 offset:23936                         // 000000007298: D86C5D80 72000015
	ds_read_b32 v115, v21 offset:24000                         // 0000000072A0: D86C5DC0 73000015
	s_waitcnt lgkmcnt(0)                                       // 0000000072A8: BF8CC07F
	v_mov_b32_e32 v7, 0                                        // 0000000072AC: 7E0E0280
	s_mov_b64 exec, s[36:37]                                   // 0000000072B0: BEFE0124
	v_mov_b32_e32 v6, v52                                      // 0000000072B4: 7E0C0334
	s_mov_b64 s[60:61], 0                                      // 0000000072B8: BEBC0180
	v_readlane_b32 s82, v3, 0                                  // 0000000072BC: D2890052 00010103
	s_and_b32 s82, s82, 0xffffff                               // 0000000072C4: 8652FF52 00FFFFFF
	s_cmp_lt_u32 s82, s66                                      // 0000000072CC: BF0A4252
	s_cselect_b32 s20, s36, s60                                // 0000000072D0: 85143C24
	v_readlane_b32 s82, v3, 1                                  // 0000000072D4: D2890052 00010303
	s_and_b32 s82, s82, 0xffffff                               // 0000000072DC: 8652FF52 00FFFFFF
	s_cmp_lt_u32 s82, s66                                      // 0000000072E4: BF0A4252
	s_cselect_b32 s21, s36, s60                                // 0000000072E8: 85153C24
	s_mov_b64 exec, s[20:21]                                   // 0000000072EC: BEFE0114
	global_atomic_add_f32 v6, v70, s[8:9] offset:8             // 0000000072F0: DD348008 00084606
	global_atomic_add_f32 v6, v74, s[8:9] offset:264           // 0000000072F8: DD348108 00084A06
	s_mov_b64 exec, s[36:37]                                   // 000000007300: BEFE0124
	v_mov_b32_e32 v6, v53                                      // 000000007304: 7E0C0335
	s_mov_b64 s[60:61], 0                                      // 000000007308: BEBC0180
	v_readlane_b32 s82, v3, 2                                  // 00000000730C: D2890052 00010503
	s_and_b32 s82, s82, 0xffffff                               // 000000007314: 8652FF52 00FFFFFF
	s_cmp_lt_u32 s82, s66                                      // 00000000731C: BF0A4252
	s_cselect_b32 s20, s36, s60                                // 000000007320: 85143C24
	v_readlane_b32 s82, v3, 3                                  // 000000007324: D2890052 00010703
	s_and_b32 s82, s82, 0xffffff                               // 00000000732C: 8652FF52 00FFFFFF
	s_cmp_lt_u32 s82, s66                                      // 000000007334: BF0A4252
	s_cselect_b32 s21, s36, s60                                // 000000007338: 85153C24
	s_mov_b64 exec, s[20:21]                                   // 00000000733C: BEFE0114
	global_atomic_add_f32 v6, v71, s[8:9] offset:8             // 000000007340: DD348008 00084706
	global_atomic_add_f32 v6, v75, s[8:9] offset:264           // 000000007348: DD348108 00084B06
	s_mov_b64 exec, s[36:37]                                   // 000000007350: BEFE0124
	v_mov_b32_e32 v6, v54                                      // 000000007354: 7E0C0336
	s_mov_b64 s[60:61], 0                                      // 000000007358: BEBC0180
	v_readlane_b32 s82, v3, 4                                  // 00000000735C: D2890052 00010903
	s_and_b32 s82, s82, 0xffffff                               // 000000007364: 8652FF52 00FFFFFF
	s_cmp_lt_u32 s82, s66                                      // 00000000736C: BF0A4252
	s_cselect_b32 s20, s36, s60                                // 000000007370: 85143C24
	v_readlane_b32 s82, v3, 5                                  // 000000007374: D2890052 00010B03
	s_and_b32 s82, s82, 0xffffff                               // 00000000737C: 8652FF52 00FFFFFF
	s_cmp_lt_u32 s82, s66                                      // 000000007384: BF0A4252
	s_cselect_b32 s21, s36, s60                                // 000000007388: 85153C24
	s_mov_b64 exec, s[20:21]                                   // 00000000738C: BEFE0114
	global_atomic_add_f32 v6, v78, s[8:9] offset:8             // 000000007390: DD348008 00084E06
	global_atomic_add_f32 v6, v82, s[8:9] offset:264           // 000000007398: DD348108 00085206
	s_mov_b64 exec, s[36:37]                                   // 0000000073A0: BEFE0124
	v_mov_b32_e32 v6, v55                                      // 0000000073A4: 7E0C0337
	s_mov_b64 s[60:61], 0                                      // 0000000073A8: BEBC0180
	v_readlane_b32 s82, v3, 6                                  // 0000000073AC: D2890052 00010D03
	s_and_b32 s82, s82, 0xffffff                               // 0000000073B4: 8652FF52 00FFFFFF
	s_cmp_lt_u32 s82, s66                                      // 0000000073BC: BF0A4252
	s_cselect_b32 s20, s36, s60                                // 0000000073C0: 85143C24
	v_readlane_b32 s82, v3, 7                                  // 0000000073C4: D2890052 00010F03
	s_and_b32 s82, s82, 0xffffff                               // 0000000073CC: 8652FF52 00FFFFFF
	s_cmp_lt_u32 s82, s66                                      // 0000000073D4: BF0A4252
	s_cselect_b32 s21, s36, s60                                // 0000000073D8: 85153C24
	s_mov_b64 exec, s[20:21]                                   // 0000000073DC: BEFE0114
	global_atomic_add_f32 v6, v79, s[8:9] offset:8             // 0000000073E0: DD348008 00084F06
	global_atomic_add_f32 v6, v83, s[8:9] offset:264           // 0000000073E8: DD348108 00085306
	s_mov_b64 exec, s[36:37]                                   // 0000000073F0: BEFE0124
	v_mov_b32_e32 v6, v56                                      // 0000000073F4: 7E0C0338
	s_mov_b64 s[60:61], 0                                      // 0000000073F8: BEBC0180
	v_readlane_b32 s82, v3, 8                                  // 0000000073FC: D2890052 00011103
	s_and_b32 s82, s82, 0xffffff                               // 000000007404: 8652FF52 00FFFFFF
	s_cmp_lt_u32 s82, s66                                      // 00000000740C: BF0A4252
	s_cselect_b32 s20, s36, s60                                // 000000007410: 85143C24
	v_readlane_b32 s82, v3, 9                                  // 000000007414: D2890052 00011303
	s_and_b32 s82, s82, 0xffffff                               // 00000000741C: 8652FF52 00FFFFFF
	s_cmp_lt_u32 s82, s66                                      // 000000007424: BF0A4252
	s_cselect_b32 s21, s36, s60                                // 000000007428: 85153C24
	s_mov_b64 exec, s[20:21]                                   // 00000000742C: BEFE0114
	global_atomic_add_f32 v6, v86, s[8:9] offset:8             // 000000007430: DD348008 00085606
	global_atomic_add_f32 v6, v90, s[8:9] offset:264           // 000000007438: DD348108 00085A06
	s_mov_b64 exec, s[36:37]                                   // 000000007440: BEFE0124
	v_mov_b32_e32 v6, v57                                      // 000000007444: 7E0C0339
	s_mov_b64 s[60:61], 0                                      // 000000007448: BEBC0180
	v_readlane_b32 s82, v3, 10                                 // 00000000744C: D2890052 00011503
	s_and_b32 s82, s82, 0xffffff                               // 000000007454: 8652FF52 00FFFFFF
	s_cmp_lt_u32 s82, s66                                      // 00000000745C: BF0A4252
	s_cselect_b32 s20, s36, s60                                // 000000007460: 85143C24
	v_readlane_b32 s82, v3, 11                                 // 000000007464: D2890052 00011703
	s_and_b32 s82, s82, 0xffffff                               // 00000000746C: 8652FF52 00FFFFFF
	s_cmp_lt_u32 s82, s66                                      // 000000007474: BF0A4252
	s_cselect_b32 s21, s36, s60                                // 000000007478: 85153C24
	s_mov_b64 exec, s[20:21]                                   // 00000000747C: BEFE0114
	global_atomic_add_f32 v6, v87, s[8:9] offset:8             // 000000007480: DD348008 00085706
	global_atomic_add_f32 v6, v91, s[8:9] offset:264           // 000000007488: DD348108 00085B06
	s_mov_b64 exec, s[36:37]                                   // 000000007490: BEFE0124
	v_mov_b32_e32 v6, v58                                      // 000000007494: 7E0C033A
	s_mov_b64 s[60:61], 0                                      // 000000007498: BEBC0180
	v_readlane_b32 s82, v3, 12                                 // 00000000749C: D2890052 00011903
	s_and_b32 s82, s82, 0xffffff                               // 0000000074A4: 8652FF52 00FFFFFF
	s_cmp_lt_u32 s82, s66                                      // 0000000074AC: BF0A4252
	s_cselect_b32 s20, s36, s60                                // 0000000074B0: 85143C24
	v_readlane_b32 s82, v3, 13                                 // 0000000074B4: D2890052 00011B03
	s_and_b32 s82, s82, 0xffffff                               // 0000000074BC: 8652FF52 00FFFFFF
	s_cmp_lt_u32 s82, s66                                      // 0000000074C4: BF0A4252
	s_cselect_b32 s21, s36, s60                                // 0000000074C8: 85153C24
	s_mov_b64 exec, s[20:21]                                   // 0000000074CC: BEFE0114
	global_atomic_add_f32 v6, v94, s[8:9] offset:8             // 0000000074D0: DD348008 00085E06
	global_atomic_add_f32 v6, v98, s[8:9] offset:264           // 0000000074D8: DD348108 00086206
	s_mov_b64 exec, s[36:37]                                   // 0000000074E0: BEFE0124
	v_mov_b32_e32 v6, v59                                      // 0000000074E4: 7E0C033B
	s_mov_b64 s[60:61], 0                                      // 0000000074E8: BEBC0180
	v_readlane_b32 s82, v3, 14                                 // 0000000074EC: D2890052 00011D03
	s_and_b32 s82, s82, 0xffffff                               // 0000000074F4: 8652FF52 00FFFFFF
	s_cmp_lt_u32 s82, s66                                      // 0000000074FC: BF0A4252
	s_cselect_b32 s20, s36, s60                                // 000000007500: 85143C24
	v_readlane_b32 s82, v3, 15                                 // 000000007504: D2890052 00011F03
	s_and_b32 s82, s82, 0xffffff                               // 00000000750C: 8652FF52 00FFFFFF
	s_cmp_lt_u32 s82, s66                                      // 000000007514: BF0A4252
	s_cselect_b32 s21, s36, s60                                // 000000007518: 85153C24
	s_mov_b64 exec, s[20:21]                                   // 00000000751C: BEFE0114
	global_atomic_add_f32 v6, v95, s[8:9] offset:8             // 000000007520: DD348008 00085F06
	global_atomic_add_f32 v6, v99, s[8:9] offset:264           // 000000007528: DD348108 00086306
	s_mov_b64 exec, s[36:37]                                   // 000000007530: BEFE0124
	v_mov_b32_e32 v6, v60                                      // 000000007534: 7E0C033C
	s_mov_b64 s[60:61], 0                                      // 000000007538: BEBC0180
	v_readlane_b32 s82, v3, 16                                 // 00000000753C: D2890052 00012103
	s_and_b32 s82, s82, 0xffffff                               // 000000007544: 8652FF52 00FFFFFF
	s_cmp_lt_u32 s82, s66                                      // 00000000754C: BF0A4252
	s_cselect_b32 s20, s36, s60                                // 000000007550: 85143C24
	v_readlane_b32 s82, v3, 17                                 // 000000007554: D2890052 00012303
	s_and_b32 s82, s82, 0xffffff                               // 00000000755C: 8652FF52 00FFFFFF
	s_cmp_lt_u32 s82, s66                                      // 000000007564: BF0A4252
	s_cselect_b32 s21, s36, s60                                // 000000007568: 85153C24
	s_mov_b64 exec, s[20:21]                                   // 00000000756C: BEFE0114
	global_atomic_add_f32 v6, v102, s[8:9] offset:8            // 000000007570: DD348008 00086606
	global_atomic_add_f32 v6, v106, s[8:9] offset:264          // 000000007578: DD348108 00086A06
	s_mov_b64 exec, s[36:37]                                   // 000000007580: BEFE0124
	v_mov_b32_e32 v6, v61                                      // 000000007584: 7E0C033D
	s_mov_b64 s[60:61], 0                                      // 000000007588: BEBC0180
	v_readlane_b32 s82, v3, 18                                 // 00000000758C: D2890052 00012503
	s_and_b32 s82, s82, 0xffffff                               // 000000007594: 8652FF52 00FFFFFF
	s_cmp_lt_u32 s82, s66                                      // 00000000759C: BF0A4252
	s_cselect_b32 s20, s36, s60                                // 0000000075A0: 85143C24
	v_readlane_b32 s82, v3, 19                                 // 0000000075A4: D2890052 00012703
	s_and_b32 s82, s82, 0xffffff                               // 0000000075AC: 8652FF52 00FFFFFF
	s_cmp_lt_u32 s82, s66                                      // 0000000075B4: BF0A4252
	s_cselect_b32 s21, s36, s60                                // 0000000075B8: 85153C24
	s_mov_b64 exec, s[20:21]                                   // 0000000075BC: BEFE0114
	global_atomic_add_f32 v6, v103, s[8:9] offset:8            // 0000000075C0: DD348008 00086706
	global_atomic_add_f32 v6, v107, s[8:9] offset:264          // 0000000075C8: DD348108 00086B06
	s_mov_b64 exec, s[36:37]                                   // 0000000075D0: BEFE0124
	v_mov_b32_e32 v6, v62                                      // 0000000075D4: 7E0C033E
	s_mov_b64 s[60:61], 0                                      // 0000000075D8: BEBC0180
	v_readlane_b32 s82, v3, 20                                 // 0000000075DC: D2890052 00012903
	s_and_b32 s82, s82, 0xffffff                               // 0000000075E4: 8652FF52 00FFFFFF
	s_cmp_lt_u32 s82, s66                                      // 0000000075EC: BF0A4252
	s_cselect_b32 s20, s36, s60                                // 0000000075F0: 85143C24
	v_readlane_b32 s82, v3, 21                                 // 0000000075F4: D2890052 00012B03
	s_and_b32 s82, s82, 0xffffff                               // 0000000075FC: 8652FF52 00FFFFFF
	s_cmp_lt_u32 s82, s66                                      // 000000007604: BF0A4252
	s_cselect_b32 s21, s36, s60                                // 000000007608: 85153C24
	s_mov_b64 exec, s[20:21]                                   // 00000000760C: BEFE0114
	global_atomic_add_f32 v6, v110, s[8:9] offset:8            // 000000007610: DD348008 00086E06
	global_atomic_add_f32 v6, v114, s[8:9] offset:264          // 000000007618: DD348108 00087206
	s_mov_b64 exec, s[36:37]                                   // 000000007620: BEFE0124
	v_mov_b32_e32 v6, v63                                      // 000000007624: 7E0C033F
	s_mov_b64 s[60:61], 0                                      // 000000007628: BEBC0180
	v_readlane_b32 s82, v3, 22                                 // 00000000762C: D2890052 00012D03
	s_and_b32 s82, s82, 0xffffff                               // 000000007634: 8652FF52 00FFFFFF
	s_cmp_lt_u32 s82, s66                                      // 00000000763C: BF0A4252
	s_cselect_b32 s20, s36, s60                                // 000000007640: 85143C24
	v_readlane_b32 s82, v3, 23                                 // 000000007644: D2890052 00012F03
	s_and_b32 s82, s82, 0xffffff                               // 00000000764C: 8652FF52 00FFFFFF
	s_cmp_lt_u32 s82, s66                                      // 000000007654: BF0A4252
	s_cselect_b32 s21, s36, s60                                // 000000007658: 85153C24
	s_mov_b64 exec, s[20:21]                                   // 00000000765C: BEFE0114
	global_atomic_add_f32 v6, v111, s[8:9] offset:8            // 000000007660: DD348008 00086F06
	global_atomic_add_f32 v6, v115, s[8:9] offset:264          // 000000007668: DD348108 00087306
	s_mov_b64 exec, s[36:37]                                   // 000000007670: BEFE0124
	ds_write_b64 v20, v[116:117]                               // 000000007674: D89A0000 00007414
	ds_write_b64 v20, v[120:121] offset:4352                   // 00000000767C: D89A1100 00007814
	ds_write_b64 v20, v[124:125] offset:8704                   // 000000007684: D89A2200 00007C14
	ds_write_b64 v20, v[128:129] offset:13056                  // 00000000768C: D89A3300 00008014
	ds_write_b64 v20, v[132:133] offset:17408                  // 000000007694: D89A4400 00008414
	ds_write_b64 v20, v[136:137] offset:21760                  // 00000000769C: D89A5500 00008814
	ds_write_b64 v20, v[140:141] offset:2176                   // 0000000076A4: D89A0880 00008C14
	ds_write_b64 v20, v[144:145] offset:6528                   // 0000000076AC: D89A1980 00009014
	ds_write_b64 v20, v[148:149] offset:10880                  // 0000000076B4: D89A2A80 00009414
	ds_write_b64 v20, v[152:153] offset:15232                  // 0000000076BC: D89A3B80 00009814
	ds_write_b64 v20, v[156:157] offset:19584                  // 0000000076C4: D89A4C80 00009C14
	ds_write_b64 v20, v[160:161] offset:23936                  // 0000000076CC: D89A5D80 0000A014
	s_waitcnt lgkmcnt(0)                                       // 0000000076D4: BF8CC07F
	s_barrier                                                  // 0000000076D8: BF8A0000
	ds_read_b32 v116, v21                                      // 0000000076DC: D86C0000 74000015
	ds_read_b32 v117, v21 offset:64                            // 0000000076E4: D86C0040 75000015
	ds_read_b32 v120, v21 offset:2176                          // 0000000076EC: D86C0880 78000015
	ds_read_b32 v121, v21 offset:2240                          // 0000000076F4: D86C08C0 79000015
	ds_read_b32 v124, v21 offset:4352                          // 0000000076FC: D86C1100 7C000015
	ds_read_b32 v125, v21 offset:4416                          // 000000007704: D86C1140 7D000015
	ds_read_b32 v128, v21 offset:6528                          // 00000000770C: D86C1980 80000015
	ds_read_b32 v129, v21 offset:6592                          // 000000007714: D86C19C0 81000015
	ds_read_b32 v132, v21 offset:8704                          // 00000000771C: D86C2200 84000015
	ds_read_b32 v133, v21 offset:8768                          // 000000007724: D86C2240 85000015
	ds_read_b32 v136, v21 offset:10880                         // 00000000772C: D86C2A80 88000015
	ds_read_b32 v137, v21 offset:10944                         // 000000007734: D86C2AC0 89000015
	ds_read_b32 v140, v21 offset:13056                         // 00000000773C: D86C3300 8C000015
	ds_read_b32 v141, v21 offset:13120                         // 000000007744: D86C3340 8D000015
	ds_read_b32 v144, v21 offset:15232                         // 00000000774C: D86C3B80 90000015
	ds_read_b32 v145, v21 offset:15296                         // 000000007754: D86C3BC0 91000015
	ds_read_b32 v148, v21 offset:17408                         // 00000000775C: D86C4400 94000015
	ds_read_b32 v149, v21 offset:17472                         // 000000007764: D86C4440 95000015
	ds_read_b32 v152, v21 offset:19584                         // 00000000776C: D86C4C80 98000015
	ds_read_b32 v153, v21 offset:19648                         // 000000007774: D86C4CC0 99000015
	ds_read_b32 v156, v21 offset:21760                         // 00000000777C: D86C5500 9C000015
	ds_read_b32 v157, v21 offset:21824                         // 000000007784: D86C5540 9D000015
	ds_read_b32 v160, v21 offset:23936                         // 00000000778C: D86C5D80 A0000015
	ds_read_b32 v161, v21 offset:24000                         // 000000007794: D86C5DC0 A1000015
	s_mul_i32 s60, s65, 4                                      // 00000000779C: 923C8441
	s_add_u32 s8, s60, s8                                      // 0000000077A0: 8008083C
	s_addc_u32 s9, 0, s9                                       // 0000000077A4: 82090980
	s_waitcnt lgkmcnt(0)                                       // 0000000077A8: BF8CC07F
	v_mov_b32_e32 v7, 0                                        // 0000000077AC: 7E0E0280
	s_mov_b64 exec, s[36:37]                                   // 0000000077B0: BEFE0124
	v_mov_b32_e32 v6, v52                                      // 0000000077B4: 7E0C0334
	s_mov_b64 s[60:61], 0                                      // 0000000077B8: BEBC0180
	v_readlane_b32 s82, v3, 0                                  // 0000000077BC: D2890052 00010103
	s_and_b32 s82, s82, 0xffffff                               // 0000000077C4: 8652FF52 00FFFFFF
	s_cmp_lt_u32 s82, s66                                      // 0000000077CC: BF0A4252
	s_cselect_b32 s20, s36, s60                                // 0000000077D0: 85143C24
	v_readlane_b32 s82, v3, 1                                  // 0000000077D4: D2890052 00010303
	s_and_b32 s82, s82, 0xffffff                               // 0000000077DC: 8652FF52 00FFFFFF
	s_cmp_lt_u32 s82, s66                                      // 0000000077E4: BF0A4252
	s_cselect_b32 s21, s36, s60                                // 0000000077E8: 85153C24
	s_mov_b64 exec, s[20:21]                                   // 0000000077EC: BEFE0114
	global_atomic_add_f32 v6, v116, s[8:9]                     // 0000000077F0: DD348000 00087406
	global_atomic_add_f32 v6, v120, s[8:9] offset:256          // 0000000077F8: DD348100 00087806
	s_mov_b64 exec, s[36:37]                                   // 000000007800: BEFE0124
	v_mov_b32_e32 v6, v53                                      // 000000007804: 7E0C0335
	s_mov_b64 s[60:61], 0                                      // 000000007808: BEBC0180
	v_readlane_b32 s82, v3, 2                                  // 00000000780C: D2890052 00010503
	s_and_b32 s82, s82, 0xffffff                               // 000000007814: 8652FF52 00FFFFFF
	s_cmp_lt_u32 s82, s66                                      // 00000000781C: BF0A4252
	s_cselect_b32 s20, s36, s60                                // 000000007820: 85143C24
	v_readlane_b32 s82, v3, 3                                  // 000000007824: D2890052 00010703
	s_and_b32 s82, s82, 0xffffff                               // 00000000782C: 8652FF52 00FFFFFF
	s_cmp_lt_u32 s82, s66                                      // 000000007834: BF0A4252
	s_cselect_b32 s21, s36, s60                                // 000000007838: 85153C24
	s_mov_b64 exec, s[20:21]                                   // 00000000783C: BEFE0114
	global_atomic_add_f32 v6, v117, s[8:9]                     // 000000007840: DD348000 00087506
	global_atomic_add_f32 v6, v121, s[8:9] offset:256          // 000000007848: DD348100 00087906
	s_mov_b64 exec, s[36:37]                                   // 000000007850: BEFE0124
	v_mov_b32_e32 v6, v54                                      // 000000007854: 7E0C0336
	s_mov_b64 s[60:61], 0                                      // 000000007858: BEBC0180
	v_readlane_b32 s82, v3, 4                                  // 00000000785C: D2890052 00010903
	s_and_b32 s82, s82, 0xffffff                               // 000000007864: 8652FF52 00FFFFFF
	s_cmp_lt_u32 s82, s66                                      // 00000000786C: BF0A4252
	s_cselect_b32 s20, s36, s60                                // 000000007870: 85143C24
	v_readlane_b32 s82, v3, 5                                  // 000000007874: D2890052 00010B03
	s_and_b32 s82, s82, 0xffffff                               // 00000000787C: 8652FF52 00FFFFFF
	s_cmp_lt_u32 s82, s66                                      // 000000007884: BF0A4252
	s_cselect_b32 s21, s36, s60                                // 000000007888: 85153C24
	s_mov_b64 exec, s[20:21]                                   // 00000000788C: BEFE0114
	global_atomic_add_f32 v6, v124, s[8:9]                     // 000000007890: DD348000 00087C06
	global_atomic_add_f32 v6, v128, s[8:9] offset:256          // 000000007898: DD348100 00088006
	s_mov_b64 exec, s[36:37]                                   // 0000000078A0: BEFE0124
	v_mov_b32_e32 v6, v55                                      // 0000000078A4: 7E0C0337
	s_mov_b64 s[60:61], 0                                      // 0000000078A8: BEBC0180
	v_readlane_b32 s82, v3, 6                                  // 0000000078AC: D2890052 00010D03
	s_and_b32 s82, s82, 0xffffff                               // 0000000078B4: 8652FF52 00FFFFFF
	s_cmp_lt_u32 s82, s66                                      // 0000000078BC: BF0A4252
	s_cselect_b32 s20, s36, s60                                // 0000000078C0: 85143C24
	v_readlane_b32 s82, v3, 7                                  // 0000000078C4: D2890052 00010F03
	s_and_b32 s82, s82, 0xffffff                               // 0000000078CC: 8652FF52 00FFFFFF
	s_cmp_lt_u32 s82, s66                                      // 0000000078D4: BF0A4252
	s_cselect_b32 s21, s36, s60                                // 0000000078D8: 85153C24
	s_mov_b64 exec, s[20:21]                                   // 0000000078DC: BEFE0114
	global_atomic_add_f32 v6, v125, s[8:9]                     // 0000000078E0: DD348000 00087D06
	global_atomic_add_f32 v6, v129, s[8:9] offset:256          // 0000000078E8: DD348100 00088106
	s_mov_b64 exec, s[36:37]                                   // 0000000078F0: BEFE0124
	v_mov_b32_e32 v6, v56                                      // 0000000078F4: 7E0C0338
	s_mov_b64 s[60:61], 0                                      // 0000000078F8: BEBC0180
	v_readlane_b32 s82, v3, 8                                  // 0000000078FC: D2890052 00011103
	s_and_b32 s82, s82, 0xffffff                               // 000000007904: 8652FF52 00FFFFFF
	s_cmp_lt_u32 s82, s66                                      // 00000000790C: BF0A4252
	s_cselect_b32 s20, s36, s60                                // 000000007910: 85143C24
	v_readlane_b32 s82, v3, 9                                  // 000000007914: D2890052 00011303
	s_and_b32 s82, s82, 0xffffff                               // 00000000791C: 8652FF52 00FFFFFF
	s_cmp_lt_u32 s82, s66                                      // 000000007924: BF0A4252
	s_cselect_b32 s21, s36, s60                                // 000000007928: 85153C24
	s_mov_b64 exec, s[20:21]                                   // 00000000792C: BEFE0114
	global_atomic_add_f32 v6, v132, s[8:9]                     // 000000007930: DD348000 00088406
	global_atomic_add_f32 v6, v136, s[8:9] offset:256          // 000000007938: DD348100 00088806
	s_mov_b64 exec, s[36:37]                                   // 000000007940: BEFE0124
	v_mov_b32_e32 v6, v57                                      // 000000007944: 7E0C0339
	s_mov_b64 s[60:61], 0                                      // 000000007948: BEBC0180
	v_readlane_b32 s82, v3, 10                                 // 00000000794C: D2890052 00011503
	s_and_b32 s82, s82, 0xffffff                               // 000000007954: 8652FF52 00FFFFFF
	s_cmp_lt_u32 s82, s66                                      // 00000000795C: BF0A4252
	s_cselect_b32 s20, s36, s60                                // 000000007960: 85143C24
	v_readlane_b32 s82, v3, 11                                 // 000000007964: D2890052 00011703
	s_and_b32 s82, s82, 0xffffff                               // 00000000796C: 8652FF52 00FFFFFF
	s_cmp_lt_u32 s82, s66                                      // 000000007974: BF0A4252
	s_cselect_b32 s21, s36, s60                                // 000000007978: 85153C24
	s_mov_b64 exec, s[20:21]                                   // 00000000797C: BEFE0114
	global_atomic_add_f32 v6, v133, s[8:9]                     // 000000007980: DD348000 00088506
	global_atomic_add_f32 v6, v137, s[8:9] offset:256          // 000000007988: DD348100 00088906
	s_mov_b64 exec, s[36:37]                                   // 000000007990: BEFE0124
	v_mov_b32_e32 v6, v58                                      // 000000007994: 7E0C033A
	s_mov_b64 s[60:61], 0                                      // 000000007998: BEBC0180
	v_readlane_b32 s82, v3, 12                                 // 00000000799C: D2890052 00011903
	s_and_b32 s82, s82, 0xffffff                               // 0000000079A4: 8652FF52 00FFFFFF
	s_cmp_lt_u32 s82, s66                                      // 0000000079AC: BF0A4252
	s_cselect_b32 s20, s36, s60                                // 0000000079B0: 85143C24
	v_readlane_b32 s82, v3, 13                                 // 0000000079B4: D2890052 00011B03
	s_and_b32 s82, s82, 0xffffff                               // 0000000079BC: 8652FF52 00FFFFFF
	s_cmp_lt_u32 s82, s66                                      // 0000000079C4: BF0A4252
	s_cselect_b32 s21, s36, s60                                // 0000000079C8: 85153C24
	s_mov_b64 exec, s[20:21]                                   // 0000000079CC: BEFE0114
	global_atomic_add_f32 v6, v140, s[8:9]                     // 0000000079D0: DD348000 00088C06
	global_atomic_add_f32 v6, v144, s[8:9] offset:256          // 0000000079D8: DD348100 00089006
	s_mov_b64 exec, s[36:37]                                   // 0000000079E0: BEFE0124
	v_mov_b32_e32 v6, v59                                      // 0000000079E4: 7E0C033B
	s_mov_b64 s[60:61], 0                                      // 0000000079E8: BEBC0180
	v_readlane_b32 s82, v3, 14                                 // 0000000079EC: D2890052 00011D03
	s_and_b32 s82, s82, 0xffffff                               // 0000000079F4: 8652FF52 00FFFFFF
	s_cmp_lt_u32 s82, s66                                      // 0000000079FC: BF0A4252
	s_cselect_b32 s20, s36, s60                                // 000000007A00: 85143C24
	v_readlane_b32 s82, v3, 15                                 // 000000007A04: D2890052 00011F03
	s_and_b32 s82, s82, 0xffffff                               // 000000007A0C: 8652FF52 00FFFFFF
	s_cmp_lt_u32 s82, s66                                      // 000000007A14: BF0A4252
	s_cselect_b32 s21, s36, s60                                // 000000007A18: 85153C24
	s_mov_b64 exec, s[20:21]                                   // 000000007A1C: BEFE0114
	global_atomic_add_f32 v6, v141, s[8:9]                     // 000000007A20: DD348000 00088D06
	global_atomic_add_f32 v6, v145, s[8:9] offset:256          // 000000007A28: DD348100 00089106
	s_mov_b64 exec, s[36:37]                                   // 000000007A30: BEFE0124
	v_mov_b32_e32 v6, v60                                      // 000000007A34: 7E0C033C
	s_mov_b64 s[60:61], 0                                      // 000000007A38: BEBC0180
	v_readlane_b32 s82, v3, 16                                 // 000000007A3C: D2890052 00012103
	s_and_b32 s82, s82, 0xffffff                               // 000000007A44: 8652FF52 00FFFFFF
	s_cmp_lt_u32 s82, s66                                      // 000000007A4C: BF0A4252
	s_cselect_b32 s20, s36, s60                                // 000000007A50: 85143C24
	v_readlane_b32 s82, v3, 17                                 // 000000007A54: D2890052 00012303
	s_and_b32 s82, s82, 0xffffff                               // 000000007A5C: 8652FF52 00FFFFFF
	s_cmp_lt_u32 s82, s66                                      // 000000007A64: BF0A4252
	s_cselect_b32 s21, s36, s60                                // 000000007A68: 85153C24
	s_mov_b64 exec, s[20:21]                                   // 000000007A6C: BEFE0114
	global_atomic_add_f32 v6, v148, s[8:9]                     // 000000007A70: DD348000 00089406
	global_atomic_add_f32 v6, v152, s[8:9] offset:256          // 000000007A78: DD348100 00089806
	s_mov_b64 exec, s[36:37]                                   // 000000007A80: BEFE0124
	v_mov_b32_e32 v6, v61                                      // 000000007A84: 7E0C033D
	s_mov_b64 s[60:61], 0                                      // 000000007A88: BEBC0180
	v_readlane_b32 s82, v3, 18                                 // 000000007A8C: D2890052 00012503
	s_and_b32 s82, s82, 0xffffff                               // 000000007A94: 8652FF52 00FFFFFF
	s_cmp_lt_u32 s82, s66                                      // 000000007A9C: BF0A4252
	s_cselect_b32 s20, s36, s60                                // 000000007AA0: 85143C24
	v_readlane_b32 s82, v3, 19                                 // 000000007AA4: D2890052 00012703
	s_and_b32 s82, s82, 0xffffff                               // 000000007AAC: 8652FF52 00FFFFFF
	s_cmp_lt_u32 s82, s66                                      // 000000007AB4: BF0A4252
	s_cselect_b32 s21, s36, s60                                // 000000007AB8: 85153C24
	s_mov_b64 exec, s[20:21]                                   // 000000007ABC: BEFE0114
	global_atomic_add_f32 v6, v149, s[8:9]                     // 000000007AC0: DD348000 00089506
	global_atomic_add_f32 v6, v153, s[8:9] offset:256          // 000000007AC8: DD348100 00089906
	s_mov_b64 exec, s[36:37]                                   // 000000007AD0: BEFE0124
	v_mov_b32_e32 v6, v62                                      // 000000007AD4: 7E0C033E
	s_mov_b64 s[60:61], 0                                      // 000000007AD8: BEBC0180
	v_readlane_b32 s82, v3, 20                                 // 000000007ADC: D2890052 00012903
	s_and_b32 s82, s82, 0xffffff                               // 000000007AE4: 8652FF52 00FFFFFF
	s_cmp_lt_u32 s82, s66                                      // 000000007AEC: BF0A4252
	s_cselect_b32 s20, s36, s60                                // 000000007AF0: 85143C24
	v_readlane_b32 s82, v3, 21                                 // 000000007AF4: D2890052 00012B03
	s_and_b32 s82, s82, 0xffffff                               // 000000007AFC: 8652FF52 00FFFFFF
	s_cmp_lt_u32 s82, s66                                      // 000000007B04: BF0A4252
	s_cselect_b32 s21, s36, s60                                // 000000007B08: 85153C24
	s_mov_b64 exec, s[20:21]                                   // 000000007B0C: BEFE0114
	global_atomic_add_f32 v6, v156, s[8:9]                     // 000000007B10: DD348000 00089C06
	global_atomic_add_f32 v6, v160, s[8:9] offset:256          // 000000007B18: DD348100 0008A006
	s_mov_b64 exec, s[36:37]                                   // 000000007B20: BEFE0124
	v_mov_b32_e32 v6, v63                                      // 000000007B24: 7E0C033F
	s_mov_b64 s[60:61], 0                                      // 000000007B28: BEBC0180
	v_readlane_b32 s82, v3, 22                                 // 000000007B2C: D2890052 00012D03
	s_and_b32 s82, s82, 0xffffff                               // 000000007B34: 8652FF52 00FFFFFF
	s_cmp_lt_u32 s82, s66                                      // 000000007B3C: BF0A4252
	s_cselect_b32 s20, s36, s60                                // 000000007B40: 85143C24
	v_readlane_b32 s82, v3, 23                                 // 000000007B44: D2890052 00012F03
	s_and_b32 s82, s82, 0xffffff                               // 000000007B4C: 8652FF52 00FFFFFF
	s_cmp_lt_u32 s82, s66                                      // 000000007B54: BF0A4252
	s_cselect_b32 s21, s36, s60                                // 000000007B58: 85153C24
	s_mov_b64 exec, s[20:21]                                   // 000000007B5C: BEFE0114
	global_atomic_add_f32 v6, v157, s[8:9]                     // 000000007B60: DD348000 00089D06
	global_atomic_add_f32 v6, v161, s[8:9] offset:256          // 000000007B68: DD348100 0008A106
	s_mov_b64 exec, s[36:37]                                   // 000000007B70: BEFE0124
	ds_write_b64 v20, v[118:119]                               // 000000007B74: D89A0000 00007614
	ds_write_b64 v20, v[122:123] offset:4352                   // 000000007B7C: D89A1100 00007A14
	ds_write_b64 v20, v[126:127] offset:8704                   // 000000007B84: D89A2200 00007E14
	ds_write_b64 v20, v[130:131] offset:13056                  // 000000007B8C: D89A3300 00008214
	ds_write_b64 v20, v[134:135] offset:17408                  // 000000007B94: D89A4400 00008614
	ds_write_b64 v20, v[138:139] offset:21760                  // 000000007B9C: D89A5500 00008A14
	ds_write_b64 v20, v[142:143] offset:2176                   // 000000007BA4: D89A0880 00008E14
	ds_write_b64 v20, v[146:147] offset:6528                   // 000000007BAC: D89A1980 00009214
	ds_write_b64 v20, v[150:151] offset:10880                  // 000000007BB4: D89A2A80 00009614
	ds_write_b64 v20, v[154:155] offset:15232                  // 000000007BBC: D89A3B80 00009A14
	ds_write_b64 v20, v[158:159] offset:19584                  // 000000007BC4: D89A4C80 00009E14
	ds_write_b64 v20, v[162:163] offset:23936                  // 000000007BCC: D89A5D80 0000A214
	s_waitcnt lgkmcnt(0)                                       // 000000007BD4: BF8CC07F
	s_barrier                                                  // 000000007BD8: BF8A0000
	ds_read_b32 v118, v21                                      // 000000007BDC: D86C0000 76000015
	ds_read_b32 v119, v21 offset:64                            // 000000007BE4: D86C0040 77000015
	ds_read_b32 v122, v21 offset:2176                          // 000000007BEC: D86C0880 7A000015
	ds_read_b32 v123, v21 offset:2240                          // 000000007BF4: D86C08C0 7B000015
	ds_read_b32 v126, v21 offset:4352                          // 000000007BFC: D86C1100 7E000015
	ds_read_b32 v127, v21 offset:4416                          // 000000007C04: D86C1140 7F000015
	ds_read_b32 v130, v21 offset:6528                          // 000000007C0C: D86C1980 82000015
	ds_read_b32 v131, v21 offset:6592                          // 000000007C14: D86C19C0 83000015
	ds_read_b32 v134, v21 offset:8704                          // 000000007C1C: D86C2200 86000015
	ds_read_b32 v135, v21 offset:8768                          // 000000007C24: D86C2240 87000015
	ds_read_b32 v138, v21 offset:10880                         // 000000007C2C: D86C2A80 8A000015
	ds_read_b32 v139, v21 offset:10944                         // 000000007C34: D86C2AC0 8B000015
	ds_read_b32 v142, v21 offset:13056                         // 000000007C3C: D86C3300 8E000015
	ds_read_b32 v143, v21 offset:13120                         // 000000007C44: D86C3340 8F000015
	ds_read_b32 v146, v21 offset:15232                         // 000000007C4C: D86C3B80 92000015
	ds_read_b32 v147, v21 offset:15296                         // 000000007C54: D86C3BC0 93000015
	ds_read_b32 v150, v21 offset:17408                         // 000000007C5C: D86C4400 96000015
	ds_read_b32 v151, v21 offset:17472                         // 000000007C64: D86C4440 97000015
	ds_read_b32 v154, v21 offset:19584                         // 000000007C6C: D86C4C80 9A000015
	ds_read_b32 v155, v21 offset:19648                         // 000000007C74: D86C4CC0 9B000015
	ds_read_b32 v158, v21 offset:21760                         // 000000007C7C: D86C5500 9E000015
	ds_read_b32 v159, v21 offset:21824                         // 000000007C84: D86C5540 9F000015
	ds_read_b32 v162, v21 offset:23936                         // 000000007C8C: D86C5D80 A2000015
	ds_read_b32 v163, v21 offset:24000                         // 000000007C94: D86C5DC0 A3000015
	s_waitcnt lgkmcnt(0)                                       // 000000007C9C: BF8CC07F
	v_mov_b32_e32 v7, 0                                        // 000000007CA0: 7E0E0280
	s_mov_b64 exec, s[36:37]                                   // 000000007CA4: BEFE0124
	v_mov_b32_e32 v6, v52                                      // 000000007CA8: 7E0C0334
	s_mov_b64 s[60:61], 0                                      // 000000007CAC: BEBC0180
	v_readlane_b32 s82, v3, 0                                  // 000000007CB0: D2890052 00010103
	s_and_b32 s82, s82, 0xffffff                               // 000000007CB8: 8652FF52 00FFFFFF
	s_cmp_lt_u32 s82, s66                                      // 000000007CC0: BF0A4252
	s_cselect_b32 s20, s36, s60                                // 000000007CC4: 85143C24
	v_readlane_b32 s82, v3, 1                                  // 000000007CC8: D2890052 00010303
	s_and_b32 s82, s82, 0xffffff                               // 000000007CD0: 8652FF52 00FFFFFF
	s_cmp_lt_u32 s82, s66                                      // 000000007CD8: BF0A4252
	s_cselect_b32 s21, s36, s60                                // 000000007CDC: 85153C24
	s_mov_b64 exec, s[20:21]                                   // 000000007CE0: BEFE0114
	global_atomic_add_f32 v6, v118, s[8:9] offset:8            // 000000007CE4: DD348008 00087606
	global_atomic_add_f32 v6, v122, s[8:9] offset:264          // 000000007CEC: DD348108 00087A06
	s_mov_b64 exec, s[36:37]                                   // 000000007CF4: BEFE0124
	v_mov_b32_e32 v6, v53                                      // 000000007CF8: 7E0C0335
	s_mov_b64 s[60:61], 0                                      // 000000007CFC: BEBC0180
	v_readlane_b32 s82, v3, 2                                  // 000000007D00: D2890052 00010503
	s_and_b32 s82, s82, 0xffffff                               // 000000007D08: 8652FF52 00FFFFFF
	s_cmp_lt_u32 s82, s66                                      // 000000007D10: BF0A4252
	s_cselect_b32 s20, s36, s60                                // 000000007D14: 85143C24
	v_readlane_b32 s82, v3, 3                                  // 000000007D18: D2890052 00010703
	s_and_b32 s82, s82, 0xffffff                               // 000000007D20: 8652FF52 00FFFFFF
	s_cmp_lt_u32 s82, s66                                      // 000000007D28: BF0A4252
	s_cselect_b32 s21, s36, s60                                // 000000007D2C: 85153C24
	s_mov_b64 exec, s[20:21]                                   // 000000007D30: BEFE0114
	global_atomic_add_f32 v6, v119, s[8:9] offset:8            // 000000007D34: DD348008 00087706
	global_atomic_add_f32 v6, v123, s[8:9] offset:264          // 000000007D3C: DD348108 00087B06
	s_mov_b64 exec, s[36:37]                                   // 000000007D44: BEFE0124
	v_mov_b32_e32 v6, v54                                      // 000000007D48: 7E0C0336
	s_mov_b64 s[60:61], 0                                      // 000000007D4C: BEBC0180
	v_readlane_b32 s82, v3, 4                                  // 000000007D50: D2890052 00010903
	s_and_b32 s82, s82, 0xffffff                               // 000000007D58: 8652FF52 00FFFFFF
	s_cmp_lt_u32 s82, s66                                      // 000000007D60: BF0A4252
	s_cselect_b32 s20, s36, s60                                // 000000007D64: 85143C24
	v_readlane_b32 s82, v3, 5                                  // 000000007D68: D2890052 00010B03
	s_and_b32 s82, s82, 0xffffff                               // 000000007D70: 8652FF52 00FFFFFF
	s_cmp_lt_u32 s82, s66                                      // 000000007D78: BF0A4252
	s_cselect_b32 s21, s36, s60                                // 000000007D7C: 85153C24
	s_mov_b64 exec, s[20:21]                                   // 000000007D80: BEFE0114
	global_atomic_add_f32 v6, v126, s[8:9] offset:8            // 000000007D84: DD348008 00087E06
	global_atomic_add_f32 v6, v130, s[8:9] offset:264          // 000000007D8C: DD348108 00088206
	s_mov_b64 exec, s[36:37]                                   // 000000007D94: BEFE0124
	v_mov_b32_e32 v6, v55                                      // 000000007D98: 7E0C0337
	s_mov_b64 s[60:61], 0                                      // 000000007D9C: BEBC0180
	v_readlane_b32 s82, v3, 6                                  // 000000007DA0: D2890052 00010D03
	s_and_b32 s82, s82, 0xffffff                               // 000000007DA8: 8652FF52 00FFFFFF
	s_cmp_lt_u32 s82, s66                                      // 000000007DB0: BF0A4252
	s_cselect_b32 s20, s36, s60                                // 000000007DB4: 85143C24
	v_readlane_b32 s82, v3, 7                                  // 000000007DB8: D2890052 00010F03
	s_and_b32 s82, s82, 0xffffff                               // 000000007DC0: 8652FF52 00FFFFFF
	s_cmp_lt_u32 s82, s66                                      // 000000007DC8: BF0A4252
	s_cselect_b32 s21, s36, s60                                // 000000007DCC: 85153C24
	s_mov_b64 exec, s[20:21]                                   // 000000007DD0: BEFE0114
	global_atomic_add_f32 v6, v127, s[8:9] offset:8            // 000000007DD4: DD348008 00087F06
	global_atomic_add_f32 v6, v131, s[8:9] offset:264          // 000000007DDC: DD348108 00088306
	s_mov_b64 exec, s[36:37]                                   // 000000007DE4: BEFE0124
	v_mov_b32_e32 v6, v56                                      // 000000007DE8: 7E0C0338
	s_mov_b64 s[60:61], 0                                      // 000000007DEC: BEBC0180
	v_readlane_b32 s82, v3, 8                                  // 000000007DF0: D2890052 00011103
	s_and_b32 s82, s82, 0xffffff                               // 000000007DF8: 8652FF52 00FFFFFF
	s_cmp_lt_u32 s82, s66                                      // 000000007E00: BF0A4252
	s_cselect_b32 s20, s36, s60                                // 000000007E04: 85143C24
	v_readlane_b32 s82, v3, 9                                  // 000000007E08: D2890052 00011303
	s_and_b32 s82, s82, 0xffffff                               // 000000007E10: 8652FF52 00FFFFFF
	s_cmp_lt_u32 s82, s66                                      // 000000007E18: BF0A4252
	s_cselect_b32 s21, s36, s60                                // 000000007E1C: 85153C24
	s_mov_b64 exec, s[20:21]                                   // 000000007E20: BEFE0114
	global_atomic_add_f32 v6, v134, s[8:9] offset:8            // 000000007E24: DD348008 00088606
	global_atomic_add_f32 v6, v138, s[8:9] offset:264          // 000000007E2C: DD348108 00088A06
	s_mov_b64 exec, s[36:37]                                   // 000000007E34: BEFE0124
	v_mov_b32_e32 v6, v57                                      // 000000007E38: 7E0C0339
	s_mov_b64 s[60:61], 0                                      // 000000007E3C: BEBC0180
	v_readlane_b32 s82, v3, 10                                 // 000000007E40: D2890052 00011503
	s_and_b32 s82, s82, 0xffffff                               // 000000007E48: 8652FF52 00FFFFFF
	s_cmp_lt_u32 s82, s66                                      // 000000007E50: BF0A4252
	s_cselect_b32 s20, s36, s60                                // 000000007E54: 85143C24
	v_readlane_b32 s82, v3, 11                                 // 000000007E58: D2890052 00011703
	s_and_b32 s82, s82, 0xffffff                               // 000000007E60: 8652FF52 00FFFFFF
	s_cmp_lt_u32 s82, s66                                      // 000000007E68: BF0A4252
	s_cselect_b32 s21, s36, s60                                // 000000007E6C: 85153C24
	s_mov_b64 exec, s[20:21]                                   // 000000007E70: BEFE0114
	global_atomic_add_f32 v6, v135, s[8:9] offset:8            // 000000007E74: DD348008 00088706
	global_atomic_add_f32 v6, v139, s[8:9] offset:264          // 000000007E7C: DD348108 00088B06
	s_mov_b64 exec, s[36:37]                                   // 000000007E84: BEFE0124
	v_mov_b32_e32 v6, v58                                      // 000000007E88: 7E0C033A
	s_mov_b64 s[60:61], 0                                      // 000000007E8C: BEBC0180
	v_readlane_b32 s82, v3, 12                                 // 000000007E90: D2890052 00011903
	s_and_b32 s82, s82, 0xffffff                               // 000000007E98: 8652FF52 00FFFFFF
	s_cmp_lt_u32 s82, s66                                      // 000000007EA0: BF0A4252
	s_cselect_b32 s20, s36, s60                                // 000000007EA4: 85143C24
	v_readlane_b32 s82, v3, 13                                 // 000000007EA8: D2890052 00011B03
	s_and_b32 s82, s82, 0xffffff                               // 000000007EB0: 8652FF52 00FFFFFF
	s_cmp_lt_u32 s82, s66                                      // 000000007EB8: BF0A4252
	s_cselect_b32 s21, s36, s60                                // 000000007EBC: 85153C24
	s_mov_b64 exec, s[20:21]                                   // 000000007EC0: BEFE0114
	global_atomic_add_f32 v6, v142, s[8:9] offset:8            // 000000007EC4: DD348008 00088E06
	global_atomic_add_f32 v6, v146, s[8:9] offset:264          // 000000007ECC: DD348108 00089206
	s_mov_b64 exec, s[36:37]                                   // 000000007ED4: BEFE0124
	v_mov_b32_e32 v6, v59                                      // 000000007ED8: 7E0C033B
	s_mov_b64 s[60:61], 0                                      // 000000007EDC: BEBC0180
	v_readlane_b32 s82, v3, 14                                 // 000000007EE0: D2890052 00011D03
	s_and_b32 s82, s82, 0xffffff                               // 000000007EE8: 8652FF52 00FFFFFF
	s_cmp_lt_u32 s82, s66                                      // 000000007EF0: BF0A4252
	s_cselect_b32 s20, s36, s60                                // 000000007EF4: 85143C24
	v_readlane_b32 s82, v3, 15                                 // 000000007EF8: D2890052 00011F03
	s_and_b32 s82, s82, 0xffffff                               // 000000007F00: 8652FF52 00FFFFFF
	s_cmp_lt_u32 s82, s66                                      // 000000007F08: BF0A4252
	s_cselect_b32 s21, s36, s60                                // 000000007F0C: 85153C24
	s_mov_b64 exec, s[20:21]                                   // 000000007F10: BEFE0114
	global_atomic_add_f32 v6, v143, s[8:9] offset:8            // 000000007F14: DD348008 00088F06
	global_atomic_add_f32 v6, v147, s[8:9] offset:264          // 000000007F1C: DD348108 00089306
	s_mov_b64 exec, s[36:37]                                   // 000000007F24: BEFE0124
	v_mov_b32_e32 v6, v60                                      // 000000007F28: 7E0C033C
	s_mov_b64 s[60:61], 0                                      // 000000007F2C: BEBC0180
	v_readlane_b32 s82, v3, 16                                 // 000000007F30: D2890052 00012103
	s_and_b32 s82, s82, 0xffffff                               // 000000007F38: 8652FF52 00FFFFFF
	s_cmp_lt_u32 s82, s66                                      // 000000007F40: BF0A4252
	s_cselect_b32 s20, s36, s60                                // 000000007F44: 85143C24
	v_readlane_b32 s82, v3, 17                                 // 000000007F48: D2890052 00012303
	s_and_b32 s82, s82, 0xffffff                               // 000000007F50: 8652FF52 00FFFFFF
	s_cmp_lt_u32 s82, s66                                      // 000000007F58: BF0A4252
	s_cselect_b32 s21, s36, s60                                // 000000007F5C: 85153C24
	s_mov_b64 exec, s[20:21]                                   // 000000007F60: BEFE0114
	global_atomic_add_f32 v6, v150, s[8:9] offset:8            // 000000007F64: DD348008 00089606
	global_atomic_add_f32 v6, v154, s[8:9] offset:264          // 000000007F6C: DD348108 00089A06
	s_mov_b64 exec, s[36:37]                                   // 000000007F74: BEFE0124
	v_mov_b32_e32 v6, v61                                      // 000000007F78: 7E0C033D
	s_mov_b64 s[60:61], 0                                      // 000000007F7C: BEBC0180
	v_readlane_b32 s82, v3, 18                                 // 000000007F80: D2890052 00012503
	s_and_b32 s82, s82, 0xffffff                               // 000000007F88: 8652FF52 00FFFFFF
	s_cmp_lt_u32 s82, s66                                      // 000000007F90: BF0A4252
	s_cselect_b32 s20, s36, s60                                // 000000007F94: 85143C24
	v_readlane_b32 s82, v3, 19                                 // 000000007F98: D2890052 00012703
	s_and_b32 s82, s82, 0xffffff                               // 000000007FA0: 8652FF52 00FFFFFF
	s_cmp_lt_u32 s82, s66                                      // 000000007FA8: BF0A4252
	s_cselect_b32 s21, s36, s60                                // 000000007FAC: 85153C24
	s_mov_b64 exec, s[20:21]                                   // 000000007FB0: BEFE0114
	global_atomic_add_f32 v6, v151, s[8:9] offset:8            // 000000007FB4: DD348008 00089706
	global_atomic_add_f32 v6, v155, s[8:9] offset:264          // 000000007FBC: DD348108 00089B06
	s_mov_b64 exec, s[36:37]                                   // 000000007FC4: BEFE0124
	v_mov_b32_e32 v6, v62                                      // 000000007FC8: 7E0C033E
	s_mov_b64 s[60:61], 0                                      // 000000007FCC: BEBC0180
	v_readlane_b32 s82, v3, 20                                 // 000000007FD0: D2890052 00012903
	s_and_b32 s82, s82, 0xffffff                               // 000000007FD8: 8652FF52 00FFFFFF
	s_cmp_lt_u32 s82, s66                                      // 000000007FE0: BF0A4252
	s_cselect_b32 s20, s36, s60                                // 000000007FE4: 85143C24
	v_readlane_b32 s82, v3, 21                                 // 000000007FE8: D2890052 00012B03
	s_and_b32 s82, s82, 0xffffff                               // 000000007FF0: 8652FF52 00FFFFFF
	s_cmp_lt_u32 s82, s66                                      // 000000007FF8: BF0A4252
	s_cselect_b32 s21, s36, s60                                // 000000007FFC: 85153C24
	s_mov_b64 exec, s[20:21]                                   // 000000008000: BEFE0114
	global_atomic_add_f32 v6, v158, s[8:9] offset:8            // 000000008004: DD348008 00089E06
	global_atomic_add_f32 v6, v162, s[8:9] offset:264          // 00000000800C: DD348108 0008A206
	s_mov_b64 exec, s[36:37]                                   // 000000008014: BEFE0124
	v_mov_b32_e32 v6, v63                                      // 000000008018: 7E0C033F
	s_mov_b64 s[60:61], 0                                      // 00000000801C: BEBC0180
	v_readlane_b32 s82, v3, 22                                 // 000000008020: D2890052 00012D03
	s_and_b32 s82, s82, 0xffffff                               // 000000008028: 8652FF52 00FFFFFF
	s_cmp_lt_u32 s82, s66                                      // 000000008030: BF0A4252
	s_cselect_b32 s20, s36, s60                                // 000000008034: 85143C24
	v_readlane_b32 s82, v3, 23                                 // 000000008038: D2890052 00012F03
	s_and_b32 s82, s82, 0xffffff                               // 000000008040: 8652FF52 00FFFFFF
	s_cmp_lt_u32 s82, s66                                      // 000000008048: BF0A4252
	s_cselect_b32 s21, s36, s60                                // 00000000804C: 85153C24
	s_mov_b64 exec, s[20:21]                                   // 000000008050: BEFE0114
	global_atomic_add_f32 v6, v159, s[8:9] offset:8            // 000000008054: DD348008 00089F06
	global_atomic_add_f32 v6, v163, s[8:9] offset:264          // 00000000805C: DD348108 0008A306
	s_mov_b64 exec, s[36:37]                                   // 000000008064: BEFE0124
	s_branch label_282C                                        // 000000008068: BF82128E

000000000000806c <label_159E>:
	s_waitcnt vmcnt(2) lgkmcnt(0)                              // 00000000806C: BF8C0072
	s_barrier                                                  // 000000008070: BF8A0000
	v_mov_b32_e32 v46, v34                                     // 000000008074: 7E5C0322
	v_mov_b32_e32 v47, v35                                     // 000000008078: 7E5E0323
	v_mov_b32_e32 v48, v36                                     // 00000000807C: 7E600324
	v_mov_b32_e32 v49, v37                                     // 000000008080: 7E620325
	v_mov_b32_e32 v50, v38                                     // 000000008084: 7E640326
	v_mov_b32_e32 v51, v39                                     // 000000008088: 7E660327
	v_mul_f32_dpp v4, v24, v46 row_newbcast:0 row_mask:0xf bank_mask:0xf// 00000000808C: 0A085CFA FF015018
	v_mfma_f32_16x16x32_fp8_fp8 v[8:11], a[96:97], a[0:1], 0   // 000000008094: D3F30008 1A020160
	buffer_load_dword v27, v23, s[32:35], 0 offen              // 00000000809C: E0501000 80081B17
	buffer_load_dwordx4 a[112:115], v64, s[84:87], 0 offen     // 0000000080A4: E05C1000 80957040
	v_mfma_f32_16x16x32_fp8_fp8 v[8:11], a[98:99], a[2:3], v[8:11]// 0000000080AC: D3F30008 1C220562
	v_mfma_f32_16x16x32_fp8_fp8 v[8:11], a[100:101], a[4:5], v[8:11]// 0000000080B4: D3F30008 1C220964
	v_mfma_f32_16x16x32_fp8_fp8 v[8:11], a[102:103], a[6:7], v[8:11]// 0000000080BC: D3F30008 1C220D66
	v_mul_f32_dpp v6, v24, v47 row_newbcast:0 row_mask:0xf bank_mask:0xf// 0000000080C4: 0A0C5EFA FF015018
	v_mfma_f32_16x16x32_fp8_fp8 v[12:15], a[96:97], a[8:9], 0  // 0000000080CC: D3F3000C 1A021160
	buffer_load_dwordx4 a[116:119], v64, s[84:87], 0 offen offset:1024// 0000000080D4: E05C1400 80957440
	v_mfma_f32_16x16x32_fp8_fp8 v[12:15], a[98:99], a[10:11], v[12:15]// 0000000080DC: D3F3000C 1C321562
	v_mfma_f32_16x16x32_fp8_fp8 v[12:15], a[100:101], a[12:13], v[12:15]// 0000000080E4: D3F3000C 1C321964
	v_mfma_f32_16x16x32_fp8_fp8 v[12:15], a[102:103], a[14:15], v[12:15]// 0000000080EC: D3F3000C 1C321D66
	v_fma_f32 v68, v8, v4, v68                                 // 0000000080F4: D1CB0044 05120908
	v_fma_f32 v69, v9, v4, v69                                 // 0000000080FC: D1CB0045 05160909
	v_fma_f32 v70, v10, v4, v70                                // 000000008104: D1CB0046 051A090A
	v_fma_f32 v71, v11, v4, v71                                // 00000000810C: D1CB0047 051E090B
	v_mul_f32_dpp v4, v24, v48 row_newbcast:0 row_mask:0xf bank_mask:0xf// 000000008114: 0A0860FA FF015018
	v_mfma_f32_16x16x32_fp8_fp8 v[8:11], a[96:97], a[16:17], 0 // 00000000811C: D3F30008 1A022160
	buffer_load_dwordx4 a[120:123], v65, s[84:87], 0 offen     // 000000008124: E05C1000 80957841
	v_mfma_f32_16x16x32_fp8_fp8 v[8:11], a[98:99], a[18:19], v[8:11]// 00000000812C: D3F30008 1C222562
	v_mfma_f32_16x16x32_fp8_fp8 v[8:11], a[100:101], a[20:21], v[8:11]// 000000008134: D3F30008 1C222964
	v_mfma_f32_16x16x32_fp8_fp8 v[8:11], a[102:103], a[22:23], v[8:11]// 00000000813C: D3F30008 1C222D66
	v_fma_f32 v72, v12, v6, v72                                // 000000008144: D1CB0048 05220D0C
	v_fma_f32 v73, v13, v6, v73                                // 00000000814C: D1CB0049 05260D0D
	v_fma_f32 v74, v14, v6, v74                                // 000000008154: D1CB004A 052A0D0E
	v_fma_f32 v75, v15, v6, v75                                // 00000000815C: D1CB004B 052E0D0F
	v_mul_f32_dpp v6, v24, v49 row_newbcast:0 row_mask:0xf bank_mask:0xf// 000000008164: 0A0C62FA FF015018
	v_mfma_f32_16x16x32_fp8_fp8 v[12:15], a[96:97], a[24:25], 0// 00000000816C: D3F3000C 1A023160
	buffer_load_dwordx4 a[124:127], v65, s[84:87], 0 offen offset:1024// 000000008174: E05C1400 80957C41
	buffer_load_dword v52, s[20:23], 0 offen lds               // 00000000817C: E0511000 80050034
	s_add_u32 m0, 0x100, s48                                   // 000000008184: 807C30FF 00000100
	v_mfma_f32_16x16x32_fp8_fp8 v[12:15], a[98:99], a[26:27], v[12:15]// 00000000818C: D3F3000C 1C323562
	v_mfma_f32_16x16x32_fp8_fp8 v[12:15], a[100:101], a[28:29], v[12:15]// 000000008194: D3F3000C 1C323964
	buffer_load_dword v53, s[20:23], 0 offen lds               // 00000000819C: E0511000 80050035
	s_add_u32 m0, 0x200, s48                                   // 0000000081A4: 807C30FF 00000200
	v_mfma_f32_16x16x32_fp8_fp8 v[12:15], a[102:103], a[30:31], v[12:15]// 0000000081AC: D3F3000C 1C323D66
	v_fma_f32 v76, v8, v4, v76                                 // 0000000081B4: D1CB004C 05320908
	v_fma_f32 v77, v9, v4, v77                                 // 0000000081BC: D1CB004D 05360909
	v_fma_f32 v78, v10, v4, v78                                // 0000000081C4: D1CB004E 053A090A
	v_fma_f32 v79, v11, v4, v79                                // 0000000081CC: D1CB004F 053E090B
	v_mul_f32_dpp v4, v24, v50 row_newbcast:0 row_mask:0xf bank_mask:0xf// 0000000081D4: 0A0864FA FF015018
	v_mfma_f32_16x16x32_fp8_fp8 v[8:11], a[96:97], a[32:33], 0 // 0000000081DC: D3F30008 1A024160
	buffer_load_dword v54, s[20:23], 0 offen lds               // 0000000081E4: E0511000 80050036
	s_add_u32 m0, 0x300, s48                                   // 0000000081EC: 807C30FF 00000300
	v_mfma_f32_16x16x32_fp8_fp8 v[8:11], a[98:99], a[34:35], v[8:11]// 0000000081F4: D3F30008 1C224562
	v_mfma_f32_16x16x32_fp8_fp8 v[8:11], a[100:101], a[36:37], v[8:11]// 0000000081FC: D3F30008 1C224964
	buffer_load_dword v55, s[20:23], 0 offen lds               // 000000008204: E0511000 80050037
	s_add_u32 m0, 0x400, s48                                   // 00000000820C: 807C30FF 00000400
	v_mfma_f32_16x16x32_fp8_fp8 v[8:11], a[102:103], a[38:39], v[8:11]// 000000008214: D3F30008 1C224D66
	v_fma_f32 v80, v12, v6, v80                                // 00000000821C: D1CB0050 05420D0C
	v_fma_f32 v81, v13, v6, v81                                // 000000008224: D1CB0051 05460D0D
	v_fma_f32 v82, v14, v6, v82                                // 00000000822C: D1CB0052 054A0D0E
	v_fma_f32 v83, v15, v6, v83                                // 000000008234: D1CB0053 054E0D0F
	v_mul_f32_dpp v6, v24, v51 row_newbcast:0 row_mask:0xf bank_mask:0xf// 00000000823C: 0A0C66FA FF015018
	v_mfma_f32_16x16x32_fp8_fp8 v[12:15], a[96:97], a[40:41], 0// 000000008244: D3F3000C 1A025160
	buffer_load_dword v56, s[20:23], 0 offen lds               // 00000000824C: E0511000 80050038
	s_add_u32 m0, 0x500, s48                                   // 000000008254: 807C30FF 00000500
	v_mfma_f32_16x16x32_fp8_fp8 v[12:15], a[98:99], a[42:43], v[12:15]// 00000000825C: D3F3000C 1C325562
	v_mfma_f32_16x16x32_fp8_fp8 v[12:15], a[100:101], a[44:45], v[12:15]// 000000008264: D3F3000C 1C325964
	buffer_load_dword v57, s[20:23], 0 offen lds               // 00000000826C: E0511000 80050039
	s_add_u32 m0, 0x600, s48                                   // 000000008274: 807C30FF 00000600
	v_mfma_f32_16x16x32_fp8_fp8 v[12:15], a[102:103], a[46:47], v[12:15]// 00000000827C: D3F3000C 1C325D66
	v_fma_f32 v84, v8, v4, v84                                 // 000000008284: D1CB0054 05520908
	v_fma_f32 v85, v9, v4, v85                                 // 00000000828C: D1CB0055 05560909
	v_fma_f32 v86, v10, v4, v86                                // 000000008294: D1CB0056 055A090A
	v_fma_f32 v87, v11, v4, v87                                // 00000000829C: D1CB0057 055E090B
	s_waitcnt vmcnt(11)                                        // 0000000082A4: BF8C0F7B
	v_mul_f32_dpp v4, v24, v46 row_newbcast:0 row_mask:0xf bank_mask:0xf// 0000000082A8: 0A085CFA FF015018
	v_mfma_f32_16x16x32_fp8_fp8 v[8:11], a[104:105], a[0:1], 0 // 0000000082B0: D3F30008 1A020168
	buffer_load_dword v58, s[20:23], 0 offen lds               // 0000000082B8: E0511000 8005003A
	s_add_u32 m0, 0x700, s48                                   // 0000000082C0: 807C30FF 00000700
	v_mfma_f32_16x16x32_fp8_fp8 v[8:11], a[106:107], a[2:3], v[8:11]// 0000000082C8: D3F30008 1C22056A
	v_mfma_f32_16x16x32_fp8_fp8 v[8:11], a[108:109], a[4:5], v[8:11]// 0000000082D0: D3F30008 1C22096C
	buffer_load_dword v59, s[20:23], 0 offen lds               // 0000000082D8: E0511000 8005003B
	s_add_u32 m0, 0x800, s48                                   // 0000000082E0: 807C30FF 00000800
	v_mfma_f32_16x16x32_fp8_fp8 v[8:11], a[110:111], a[6:7], v[8:11]// 0000000082E8: D3F30008 1C220D6E
	v_fma_f32 v88, v12, v6, v88                                // 0000000082F0: D1CB0058 05620D0C
	v_fma_f32 v89, v13, v6, v89                                // 0000000082F8: D1CB0059 05660D0D
	v_fma_f32 v90, v14, v6, v90                                // 000000008300: D1CB005A 056A0D0E
	v_fma_f32 v91, v15, v6, v91                                // 000000008308: D1CB005B 056E0D0F
	v_mul_f32_dpp v6, v24, v47 row_newbcast:0 row_mask:0xf bank_mask:0xf// 000000008310: 0A0C5EFA FF015018
	v_mfma_f32_16x16x32_fp8_fp8 v[12:15], a[104:105], a[8:9], 0// 000000008318: D3F3000C 1A021168
	buffer_load_dword v60, s[20:23], 0 offen lds               // 000000008320: E0511000 8005003C
	s_add_u32 m0, 0x900, s48                                   // 000000008328: 807C30FF 00000900
	v_mfma_f32_16x16x32_fp8_fp8 v[12:15], a[106:107], a[10:11], v[12:15]// 000000008330: D3F3000C 1C32156A
	v_mfma_f32_16x16x32_fp8_fp8 v[12:15], a[108:109], a[12:13], v[12:15]// 000000008338: D3F3000C 1C32196C
	buffer_load_dword v61, s[20:23], 0 offen lds               // 000000008340: E0511000 8005003D
	s_add_u32 m0, 0xa00, s48                                   // 000000008348: 807C30FF 00000A00
	v_mfma_f32_16x16x32_fp8_fp8 v[12:15], a[110:111], a[14:15], v[12:15]// 000000008350: D3F3000C 1C321D6E
	v_fma_f32 v92, v8, v4, v92                                 // 000000008358: D1CB005C 05720908
	v_fma_f32 v93, v9, v4, v93                                 // 000000008360: D1CB005D 05760909
	v_fma_f32 v94, v10, v4, v94                                // 000000008368: D1CB005E 057A090A
	v_fma_f32 v95, v11, v4, v95                                // 000000008370: D1CB005F 057E090B
	v_mul_f32_dpp v4, v24, v48 row_newbcast:0 row_mask:0xf bank_mask:0xf// 000000008378: 0A0860FA FF015018
	v_mfma_f32_16x16x32_fp8_fp8 v[8:11], a[104:105], a[16:17], 0// 000000008380: D3F30008 1A022168
	buffer_load_dword v62, s[20:23], 0 offen lds               // 000000008388: E0511000 8005003E
	s_add_u32 m0, 0xb00, s48                                   // 000000008390: 807C30FF 00000B00
	v_mfma_f32_16x16x32_fp8_fp8 v[8:11], a[106:107], a[18:19], v[8:11]// 000000008398: D3F30008 1C22256A
	v_mfma_f32_16x16x32_fp8_fp8 v[8:11], a[108:109], a[20:21], v[8:11]// 0000000083A0: D3F30008 1C22296C
	buffer_load_dword v63, s[20:23], 0 offen lds               // 0000000083A8: E0511000 8005003F
	s_add_u32 m0, 0, s49                                       // 0000000083B0: 807C3180
	v_mfma_f32_16x16x32_fp8_fp8 v[8:11], a[110:111], a[22:23], v[8:11]// 0000000083B4: D3F30008 1C222D6E
	v_fma_f32 v96, v12, v6, v96                                // 0000000083BC: D1CB0060 05820D0C
	v_fma_f32 v97, v13, v6, v97                                // 0000000083C4: D1CB0061 05860D0D
	v_fma_f32 v98, v14, v6, v98                                // 0000000083CC: D1CB0062 058A0D0E
	v_fma_f32 v99, v15, v6, v99                                // 0000000083D4: D1CB0063 058E0D0F
	v_mul_f32_dpp v6, v24, v49 row_newbcast:0 row_mask:0xf bank_mask:0xf// 0000000083DC: 0A0C62FA FF015018
	v_mfma_f32_16x16x32_fp8_fp8 v[12:15], a[104:105], a[24:25], 0// 0000000083E4: D3F3000C 1A023168
	buffer_load_dword v34, v28, s[28:31], 0 offen              // 0000000083EC: E0501000 8007221C
	v_mfma_f32_16x16x32_fp8_fp8 v[12:15], a[106:107], a[26:27], v[12:15]// 0000000083F4: D3F3000C 1C32356A
	v_mfma_f32_16x16x32_fp8_fp8 v[12:15], a[108:109], a[28:29], v[12:15]// 0000000083FC: D3F3000C 1C32396C
	buffer_load_dword v35, v29, s[28:31], 0 offen              // 000000008404: E0501000 8007231D
	v_mfma_f32_16x16x32_fp8_fp8 v[12:15], a[110:111], a[30:31], v[12:15]// 00000000840C: D3F3000C 1C323D6E
	v_fma_f32 v100, v8, v4, v100                               // 000000008414: D1CB0064 05920908
	v_fma_f32 v101, v9, v4, v101                               // 00000000841C: D1CB0065 05960909
	v_fma_f32 v102, v10, v4, v102                              // 000000008424: D1CB0066 059A090A
	v_fma_f32 v103, v11, v4, v103                              // 00000000842C: D1CB0067 059E090B
	v_mul_f32_dpp v4, v24, v50 row_newbcast:0 row_mask:0xf bank_mask:0xf// 000000008434: 0A0864FA FF015018
	v_mfma_f32_16x16x32_fp8_fp8 v[8:11], a[104:105], a[32:33], 0// 00000000843C: D3F30008 1A024168
	buffer_load_dword v36, v30, s[28:31], 0 offen              // 000000008444: E0501000 8007241E
	v_mfma_f32_16x16x32_fp8_fp8 v[8:11], a[106:107], a[34:35], v[8:11]// 00000000844C: D3F30008 1C22456A
	v_mfma_f32_16x16x32_fp8_fp8 v[8:11], a[108:109], a[36:37], v[8:11]// 000000008454: D3F30008 1C22496C
	buffer_load_dword v37, v31, s[28:31], 0 offen              // 00000000845C: E0501000 8007251F
	v_mfma_f32_16x16x32_fp8_fp8 v[8:11], a[110:111], a[38:39], v[8:11]// 000000008464: D3F30008 1C224D6E
	v_fma_f32 v104, v12, v6, v104                              // 00000000846C: D1CB0068 05A20D0C
	v_fma_f32 v105, v13, v6, v105                              // 000000008474: D1CB0069 05A60D0D
	v_fma_f32 v106, v14, v6, v106                              // 00000000847C: D1CB006A 05AA0D0E
	v_fma_f32 v107, v15, v6, v107                              // 000000008484: D1CB006B 05AE0D0F
	v_mul_f32_dpp v6, v24, v51 row_newbcast:0 row_mask:0xf bank_mask:0xf// 00000000848C: 0A0C66FA FF015018
	v_mfma_f32_16x16x32_fp8_fp8 v[12:15], a[104:105], a[40:41], 0// 000000008494: D3F3000C 1A025168
	buffer_load_dword v38, v32, s[28:31], 0 offen              // 00000000849C: E0501000 80072620
	v_mfma_f32_16x16x32_fp8_fp8 v[12:15], a[106:107], a[42:43], v[12:15]// 0000000084A4: D3F3000C 1C32556A
	s_add_u32 s60, 0x80, s80                                   // 0000000084AC: 803C50FF 00000080
	s_cmp_lt_u32 s60, s81                                      // 0000000084B4: BF0A513C
	s_cselect_b32 s83, s83, 0                                  // 0000000084B8: 85538053
	s_cselect_b32 s4, s4, 0                                    // 0000000084BC: 85048004
	v_mfma_f32_16x16x32_fp8_fp8 v[12:15], a[108:109], a[44:45], v[12:15]// 0000000084C0: D3F3000C 1C32596C
	buffer_load_dword v39, v33, s[28:31], 0 offen              // 0000000084C8: E0501000 80072721
	s_add_u32 s32, s4, s32                                     // 0000000084D0: 80202004
	s_addc_u32 s33, 0, s33                                     // 0000000084D4: 82212180
	v_mfma_f32_16x16x32_fp8_fp8 v[12:15], a[110:111], a[46:47], v[12:15]// 0000000084D8: D3F3000C 1C325D6E
	v_fma_f32 v108, v8, v4, v108                               // 0000000084E0: D1CB006C 05B20908
	v_fma_f32 v109, v9, v4, v109                               // 0000000084E8: D1CB006D 05B60909
	v_fma_f32 v110, v10, v4, v110                              // 0000000084F0: D1CB006E 05BA090A
	v_fma_f32 v111, v11, v4, v111                              // 0000000084F8: D1CB006F 05BE090B
	v_fma_f32 v112, v12, v6, v112                              // 000000008500: D1CB0070 05C20D0C
	v_fma_f32 v113, v13, v6, v113                              // 000000008508: D1CB0071 05C60D0D
	v_fma_f32 v114, v14, v6, v114                              // 000000008510: D1CB0072 05CA0D0E
	v_fma_f32 v115, v15, v6, v115                              // 000000008518: D1CB0073 05CE0D0F
	s_waitcnt vmcnt(18)                                        // 000000008520: BF8C4F72
	v_mul_f32_dpp v4, v27, v46 row_newbcast:0 row_mask:0xf bank_mask:0xf// 000000008524: 0A085CFA FF01501B
	v_mfma_f32_16x16x32_fp8_fp8 v[8:11], a[112:113], a[0:1], 0 // 00000000852C: D3F30008 1A020170
	buffer_load_dword v24, v22, s[32:35], 0 offen              // 000000008534: E0501000 80081816
	buffer_load_dwordx4 a[96:99], v64, s[24:27], 0 offen       // 00000000853C: E05C1000 80866040
	v_mfma_f32_16x16x32_fp8_fp8 v[8:11], a[114:115], a[2:3], v[8:11]// 000000008544: D3F30008 1C220572
	v_mfma_f32_16x16x32_fp8_fp8 v[8:11], a[116:117], a[4:5], v[8:11]// 00000000854C: D3F30008 1C220974
	ds_read_b128 a[48:51], v2 offset:12416                     // 000000008554: DBFE3080 30000002
	ds_read_b128 a[52:55], v2 offset:12480                     // 00000000855C: DBFE30C0 34000002
	v_mfma_f32_16x16x32_fp8_fp8 v[8:11], a[118:119], a[6:7], v[8:11]// 000000008564: D3F30008 1C220D76
	v_mfma_f32_16x16x32_fp8_fp8 v[12:15], a[120:121], a[0:1], 0// 00000000856C: D3F3000C 1A020178
	buffer_load_dwordx4 a[100:103], v64, s[24:27], 0 offen offset:1024// 000000008574: E05C1400 80866440
	v_mfma_f32_16x16x32_fp8_fp8 v[12:15], a[122:123], a[2:3], v[12:15]// 00000000857C: D3F3000C 1C32057A
	v_mfma_f32_16x16x32_fp8_fp8 v[12:15], a[124:125], a[4:5], v[12:15]// 000000008584: D3F3000C 1C32097C
	ds_read_b128 a[56:59], v2 offset:12928                     // 00000000858C: DBFE3280 38000002
	ds_read_b128 a[60:63], v2 offset:12992                     // 000000008594: DBFE32C0 3C000002
	v_mfma_f32_16x16x32_fp8_fp8 v[12:15], a[126:127], a[6:7], v[12:15]// 00000000859C: D3F3000C 1C320D7E
	v_fma_f32 v116, v8, v4, v116                               // 0000000085A4: D1CB0074 05D20908
	v_fma_f32 v117, v9, v4, v117                               // 0000000085AC: D1CB0075 05D60909
	v_fma_f32 v118, v10, v4, v118                              // 0000000085B4: D1CB0076 05DA090A
	v_fma_f32 v119, v11, v4, v119                              // 0000000085BC: D1CB0077 05DE090B
	v_mul_f32_dpp v6, v27, v47 row_newbcast:0 row_mask:0xf bank_mask:0xf// 0000000085C4: 0A0C5EFA FF01501B
	v_mfma_f32_16x16x32_fp8_fp8 v[8:11], a[112:113], a[8:9], 0 // 0000000085CC: D3F30008 1A021170
	buffer_load_dwordx4 a[104:107], v65, s[24:27], 0 offen     // 0000000085D4: E05C1000 80866841
	v_mfma_f32_16x16x32_fp8_fp8 v[8:11], a[114:115], a[10:11], v[8:11]// 0000000085DC: D3F30008 1C221572
	v_mfma_f32_16x16x32_fp8_fp8 v[8:11], a[116:117], a[12:13], v[8:11]// 0000000085E4: D3F30008 1C221974
	ds_read_b128 a[64:67], v2 offset:13440                     // 0000000085EC: DBFE3480 40000002
	ds_read_b128 a[68:71], v2 offset:13504                     // 0000000085F4: DBFE34C0 44000002
	v_mfma_f32_16x16x32_fp8_fp8 v[8:11], a[118:119], a[14:15], v[8:11]// 0000000085FC: D3F30008 1C221D76
	v_fma_f32 v140, v12, v4, v140                              // 000000008604: D1CB008C 0632090C
	v_fma_f32 v141, v13, v4, v141                              // 00000000860C: D1CB008D 0636090D
	v_fma_f32 v142, v14, v4, v142                              // 000000008614: D1CB008E 063A090E
	v_fma_f32 v143, v15, v4, v143                              // 00000000861C: D1CB008F 063E090F
	v_mfma_f32_16x16x32_fp8_fp8 v[12:15], a[120:121], a[8:9], 0// 000000008624: D3F3000C 1A021178
	buffer_load_dwordx4 a[108:111], v65, s[24:27], 0 offen offset:1024// 00000000862C: E05C1400 80866C41
	v_mfma_f32_16x16x32_fp8_fp8 v[12:15], a[122:123], a[10:11], v[12:15]// 000000008634: D3F3000C 1C32157A
	v_mfma_f32_16x16x32_fp8_fp8 v[12:15], a[124:125], a[12:13], v[12:15]// 00000000863C: D3F3000C 1C32197C
	ds_read_b128 a[72:75], v2 offset:13952                     // 000000008644: DBFE3680 48000002
	ds_read_b128 a[76:79], v2 offset:14016                     // 00000000864C: DBFE36C0 4C000002
	v_mfma_f32_16x16x32_fp8_fp8 v[12:15], a[126:127], a[14:15], v[12:15]// 000000008654: D3F3000C 1C321D7E
	v_fma_f32 v120, v8, v6, v120                               // 00000000865C: D1CB0078 05E20D08
	v_fma_f32 v121, v9, v6, v121                               // 000000008664: D1CB0079 05E60D09
	v_fma_f32 v122, v10, v6, v122                              // 00000000866C: D1CB007A 05EA0D0A
	v_fma_f32 v123, v11, v6, v123                              // 000000008674: D1CB007B 05EE0D0B
	v_mul_f32_dpp v4, v27, v48 row_newbcast:0 row_mask:0xf bank_mask:0xf// 00000000867C: 0A0860FA FF01501B
	v_mfma_f32_16x16x32_fp8_fp8 v[8:11], a[112:113], a[16:17], 0// 000000008684: D3F30008 1A022170
	v_mfma_f32_16x16x32_fp8_fp8 v[8:11], a[114:115], a[18:19], v[8:11]// 00000000868C: D3F30008 1C222572
	v_mfma_f32_16x16x32_fp8_fp8 v[8:11], a[116:117], a[20:21], v[8:11]// 000000008694: D3F30008 1C222974
	ds_read_b128 a[80:83], v2 offset:14464                     // 00000000869C: DBFE3880 50000002
	ds_read_b128 a[84:87], v2 offset:14528                     // 0000000086A4: DBFE38C0 54000002
	v_mfma_f32_16x16x32_fp8_fp8 v[8:11], a[118:119], a[22:23], v[8:11]// 0000000086AC: D3F30008 1C222D76
	v_fma_f32 v144, v12, v6, v144                              // 0000000086B4: D1CB0090 06420D0C
	v_fma_f32 v145, v13, v6, v145                              // 0000000086BC: D1CB0091 06460D0D
	v_fma_f32 v146, v14, v6, v146                              // 0000000086C4: D1CB0092 064A0D0E
	v_fma_f32 v147, v15, v6, v147                              // 0000000086CC: D1CB0093 064E0D0F
	v_mfma_f32_16x16x32_fp8_fp8 v[12:15], a[120:121], a[16:17], 0// 0000000086D4: D3F3000C 1A022178
	v_mfma_f32_16x16x32_fp8_fp8 v[12:15], a[122:123], a[18:19], v[12:15]// 0000000086DC: D3F3000C 1C32257A
	v_mfma_f32_16x16x32_fp8_fp8 v[12:15], a[124:125], a[20:21], v[12:15]// 0000000086E4: D3F3000C 1C32297C
	ds_read_b128 a[88:91], v2 offset:14976                     // 0000000086EC: DBFE3A80 58000002
	ds_read_b128 a[92:95], v2 offset:15040                     // 0000000086F4: DBFE3AC0 5C000002
	v_mfma_f32_16x16x32_fp8_fp8 v[12:15], a[126:127], a[22:23], v[12:15]// 0000000086FC: D3F3000C 1C322D7E
	v_fma_f32 v124, v8, v4, v124                               // 000000008704: D1CB007C 05F20908
	v_fma_f32 v125, v9, v4, v125                               // 00000000870C: D1CB007D 05F60909
	v_fma_f32 v126, v10, v4, v126                              // 000000008714: D1CB007E 05FA090A
	v_fma_f32 v127, v11, v4, v127                              // 00000000871C: D1CB007F 05FE090B
	v_mul_f32_dpp v6, v27, v49 row_newbcast:0 row_mask:0xf bank_mask:0xf// 000000008724: 0A0C62FA FF01501B
	v_mfma_f32_16x16x32_fp8_fp8 v[8:11], a[112:113], a[24:25], 0// 00000000872C: D3F30008 1A023170
	v_mfma_f32_16x16x32_fp8_fp8 v[8:11], a[114:115], a[26:27], v[8:11]// 000000008734: D3F30008 1C223572
	v_mfma_f32_16x16x32_fp8_fp8 v[8:11], a[116:117], a[28:29], v[8:11]// 00000000873C: D3F30008 1C223974
	v_mfma_f32_16x16x32_fp8_fp8 v[8:11], a[118:119], a[30:31], v[8:11]// 000000008744: D3F30008 1C223D76
	v_fma_f32 v148, v12, v4, v148                              // 00000000874C: D1CB0094 0652090C
	v_fma_f32 v149, v13, v4, v149                              // 000000008754: D1CB0095 0656090D
	v_fma_f32 v150, v14, v4, v150                              // 00000000875C: D1CB0096 065A090E
	v_fma_f32 v151, v15, v4, v151                              // 000000008764: D1CB0097 065E090F
	v_mfma_f32_16x16x32_fp8_fp8 v[12:15], a[120:121], a[24:25], 0// 00000000876C: D3F3000C 1A023178
	v_mfma_f32_16x16x32_fp8_fp8 v[12:15], a[122:123], a[26:27], v[12:15]// 000000008774: D3F3000C 1C32357A
	v_mfma_f32_16x16x32_fp8_fp8 v[12:15], a[124:125], a[28:29], v[12:15]// 00000000877C: D3F3000C 1C32397C
	v_mfma_f32_16x16x32_fp8_fp8 v[12:15], a[126:127], a[30:31], v[12:15]// 000000008784: D3F3000C 1C323D7E
	v_fma_f32 v128, v8, v6, v128                               // 00000000878C: D1CB0080 06020D08
	v_fma_f32 v129, v9, v6, v129                               // 000000008794: D1CB0081 06060D09
	v_fma_f32 v130, v10, v6, v130                              // 00000000879C: D1CB0082 060A0D0A
	v_fma_f32 v131, v11, v6, v131                              // 0000000087A4: D1CB0083 060E0D0B
	v_mul_f32_dpp v4, v27, v50 row_newbcast:0 row_mask:0xf bank_mask:0xf// 0000000087AC: 0A0864FA FF01501B
	v_mfma_f32_16x16x32_fp8_fp8 v[8:11], a[112:113], a[32:33], 0// 0000000087B4: D3F30008 1A024170
	v_mfma_f32_16x16x32_fp8_fp8 v[8:11], a[114:115], a[34:35], v[8:11]// 0000000087BC: D3F30008 1C224572
	v_mfma_f32_16x16x32_fp8_fp8 v[8:11], a[116:117], a[36:37], v[8:11]// 0000000087C4: D3F30008 1C224974
	v_mfma_f32_16x16x32_fp8_fp8 v[8:11], a[118:119], a[38:39], v[8:11]// 0000000087CC: D3F30008 1C224D76
	v_fma_f32 v152, v12, v6, v152                              // 0000000087D4: D1CB0098 06620D0C
	v_fma_f32 v153, v13, v6, v153                              // 0000000087DC: D1CB0099 06660D0D
	v_fma_f32 v154, v14, v6, v154                              // 0000000087E4: D1CB009A 066A0D0E
	v_fma_f32 v155, v15, v6, v155                              // 0000000087EC: D1CB009B 066E0D0F
	v_mfma_f32_16x16x32_fp8_fp8 v[12:15], a[120:121], a[32:33], 0// 0000000087F4: D3F3000C 1A024178
	v_mfma_f32_16x16x32_fp8_fp8 v[12:15], a[122:123], a[34:35], v[12:15]// 0000000087FC: D3F3000C 1C32457A
	v_mfma_f32_16x16x32_fp8_fp8 v[12:15], a[124:125], a[36:37], v[12:15]// 000000008804: D3F3000C 1C32497C
	v_mfma_f32_16x16x32_fp8_fp8 v[12:15], a[126:127], a[38:39], v[12:15]// 00000000880C: D3F3000C 1C324D7E
	v_fma_f32 v132, v8, v4, v132                               // 000000008814: D1CB0084 06120908
	v_fma_f32 v133, v9, v4, v133                               // 00000000881C: D1CB0085 06160909
	v_fma_f32 v134, v10, v4, v134                              // 000000008824: D1CB0086 061A090A
	v_fma_f32 v135, v11, v4, v135                              // 00000000882C: D1CB0087 061E090B
	v_mul_f32_dpp v6, v27, v51 row_newbcast:0 row_mask:0xf bank_mask:0xf// 000000008834: 0A0C66FA FF01501B
	v_mfma_f32_16x16x32_fp8_fp8 v[8:11], a[112:113], a[40:41], 0// 00000000883C: D3F30008 1A025170
	v_mfma_f32_16x16x32_fp8_fp8 v[8:11], a[114:115], a[42:43], v[8:11]// 000000008844: D3F30008 1C225572
	v_mfma_f32_16x16x32_fp8_fp8 v[8:11], a[116:117], a[44:45], v[8:11]// 00000000884C: D3F30008 1C225974
	s_add_u32 s60, 0x180, s80                                  // 000000008854: 803C50FF 00000180
	s_cmp_lt_u32 s60, s81                                      // 00000000885C: BF0A513C
	s_cselect_b32 s57, s57, 0                                  // 000000008860: 85398039
	s_cselect_b32 s3, s3, 0                                    // 000000008864: 85038003
	v_mfma_f32_16x16x32_fp8_fp8 v[8:11], a[118:119], a[46:47], v[8:11]// 000000008868: D3F30008 1C225D76
	s_add_u32 s60, 0x100, s80                                  // 000000008870: 803C50FF 00000100
	s_cmp_lt_u32 s60, s81                                      // 000000008878: BF0A513C
	s_cselect_b32 s58, s58, 0                                  // 00000000887C: 853A803A
	v_fma_f32 v156, v12, v4, v156                              // 000000008880: D1CB009C 0672090C
	v_fma_f32 v157, v13, v4, v157                              // 000000008888: D1CB009D 0676090D
	v_fma_f32 v158, v14, v4, v158                              // 000000008890: D1CB009E 067A090E
	v_fma_f32 v159, v15, v4, v159                              // 000000008898: D1CB009F 067E090F
	v_mfma_f32_16x16x32_fp8_fp8 v[12:15], a[120:121], a[40:41], 0// 0000000088A0: D3F3000C 1A025178
	s_add_u32 s24, s58, s24                                    // 0000000088A8: 8018183A
	s_addc_u32 s25, 0, s25                                     // 0000000088AC: 82191980
	v_mfma_f32_16x16x32_fp8_fp8 v[12:15], a[122:123], a[42:43], v[12:15]// 0000000088B0: D3F3000C 1C32557A
	s_add_u32 s20, s57, s20                                    // 0000000088B8: 80141439
	s_addc_u32 s21, 0, s21                                     // 0000000088BC: 82151580
	s_add_u32 s28, s3, s28                                     // 0000000088C0: 801C1C03
	s_addc_u32 s29, 0, s29                                     // 0000000088C4: 821D1D80
	v_mfma_f32_16x16x32_fp8_fp8 v[12:15], a[124:125], a[44:45], v[12:15]// 0000000088C8: D3F3000C 1C32597C
	s_add_u32 s84, s83, s84                                    // 0000000088D0: 80545453
	s_addc_u32 s85, 0, s85                                     // 0000000088D4: 82555580
	v_mfma_f32_16x16x32_fp8_fp8 v[12:15], a[126:127], a[46:47], v[12:15]// 0000000088D8: D3F3000C 1C325D7E
	v_fma_f32 v136, v8, v6, v136                               // 0000000088E0: D1CB0088 06220D08
	v_fma_f32 v137, v9, v6, v137                               // 0000000088E8: D1CB0089 06260D09
	v_fma_f32 v138, v10, v6, v138                              // 0000000088F0: D1CB008A 062A0D0A
	v_fma_f32 v139, v11, v6, v139                              // 0000000088F8: D1CB008B 062E0D0B
	v_fma_f32 v160, v12, v6, v160                              // 000000008900: D1CB00A0 06820D0C
	v_fma_f32 v161, v13, v6, v161                              // 000000008908: D1CB00A1 06860D0D
	v_fma_f32 v162, v14, v6, v162                              // 000000008910: D1CB00A2 068A0D0E
	v_fma_f32 v163, v15, v6, v163                              // 000000008918: D1CB00A3 068E0D0F
	s_addk_i32 s80, 0x80                                       // 000000008920: B7500080
	s_cmp_lt_i32 s80, s81                                      // 000000008924: BF045150
	s_cbranch_scc0 label_19FF                                  // 000000008928: BF840231
	s_waitcnt vmcnt(2) lgkmcnt(0)                              // 00000000892C: BF8C0072
	s_barrier                                                  // 000000008930: BF8A0000
	v_mov_b32_e32 v46, v40                                     // 000000008934: 7E5C0328
	v_mov_b32_e32 v47, v41                                     // 000000008938: 7E5E0329
	v_mov_b32_e32 v48, v42                                     // 00000000893C: 7E60032A
	v_mov_b32_e32 v49, v43                                     // 000000008940: 7E62032B
	v_mov_b32_e32 v50, v44                                     // 000000008944: 7E64032C
	v_mov_b32_e32 v51, v45                                     // 000000008948: 7E66032D
	v_mul_f32_dpp v4, v24, v46 row_newbcast:0 row_mask:0xf bank_mask:0xf// 00000000894C: 0A085CFA FF015018
	v_mfma_f32_16x16x32_fp8_fp8 v[8:11], a[96:97], a[48:49], 0 // 000000008954: D3F30008 1A026160
	buffer_load_dword v27, v23, s[32:35], 0 offen              // 00000000895C: E0501000 80081B17
	buffer_load_dwordx4 a[112:115], v64, s[84:87], 0 offen     // 000000008964: E05C1000 80957040
	v_mfma_f32_16x16x32_fp8_fp8 v[8:11], a[98:99], a[50:51], v[8:11]// 00000000896C: D3F30008 1C226562
	v_mfma_f32_16x16x32_fp8_fp8 v[8:11], a[100:101], a[52:53], v[8:11]// 000000008974: D3F30008 1C226964
	v_mfma_f32_16x16x32_fp8_fp8 v[8:11], a[102:103], a[54:55], v[8:11]// 00000000897C: D3F30008 1C226D66
	v_mul_f32_dpp v6, v24, v47 row_newbcast:0 row_mask:0xf bank_mask:0xf// 000000008984: 0A0C5EFA FF015018
	v_mfma_f32_16x16x32_fp8_fp8 v[12:15], a[96:97], a[56:57], 0// 00000000898C: D3F3000C 1A027160
	buffer_load_dwordx4 a[116:119], v64, s[84:87], 0 offen offset:1024// 000000008994: E05C1400 80957440
	v_mfma_f32_16x16x32_fp8_fp8 v[12:15], a[98:99], a[58:59], v[12:15]// 00000000899C: D3F3000C 1C327562
	v_mfma_f32_16x16x32_fp8_fp8 v[12:15], a[100:101], a[60:61], v[12:15]// 0000000089A4: D3F3000C 1C327964
	v_mfma_f32_16x16x32_fp8_fp8 v[12:15], a[102:103], a[62:63], v[12:15]// 0000000089AC: D3F3000C 1C327D66
	v_fma_f32 v68, v8, v4, v68                                 // 0000000089B4: D1CB0044 05120908
	v_fma_f32 v69, v9, v4, v69                                 // 0000000089BC: D1CB0045 05160909
	v_fma_f32 v70, v10, v4, v70                                // 0000000089C4: D1CB0046 051A090A
	v_fma_f32 v71, v11, v4, v71                                // 0000000089CC: D1CB0047 051E090B
	v_mul_f32_dpp v4, v24, v48 row_newbcast:0 row_mask:0xf bank_mask:0xf// 0000000089D4: 0A0860FA FF015018
	v_mfma_f32_16x16x32_fp8_fp8 v[8:11], a[96:97], a[64:65], 0 // 0000000089DC: D3F30008 1A028160
	buffer_load_dwordx4 a[120:123], v65, s[84:87], 0 offen     // 0000000089E4: E05C1000 80957841
	v_mfma_f32_16x16x32_fp8_fp8 v[8:11], a[98:99], a[66:67], v[8:11]// 0000000089EC: D3F30008 1C228562
	v_mfma_f32_16x16x32_fp8_fp8 v[8:11], a[100:101], a[68:69], v[8:11]// 0000000089F4: D3F30008 1C228964
	v_mfma_f32_16x16x32_fp8_fp8 v[8:11], a[102:103], a[70:71], v[8:11]// 0000000089FC: D3F30008 1C228D66
	v_fma_f32 v72, v12, v6, v72                                // 000000008A04: D1CB0048 05220D0C
	v_fma_f32 v73, v13, v6, v73                                // 000000008A0C: D1CB0049 05260D0D
	v_fma_f32 v74, v14, v6, v74                                // 000000008A14: D1CB004A 052A0D0E
	v_fma_f32 v75, v15, v6, v75                                // 000000008A1C: D1CB004B 052E0D0F
	v_mul_f32_dpp v6, v24, v49 row_newbcast:0 row_mask:0xf bank_mask:0xf// 000000008A24: 0A0C62FA FF015018
	v_mfma_f32_16x16x32_fp8_fp8 v[12:15], a[96:97], a[72:73], 0// 000000008A2C: D3F3000C 1A029160
	buffer_load_dwordx4 a[124:127], v65, s[84:87], 0 offen offset:1024// 000000008A34: E05C1400 80957C41
	buffer_load_dword v52, s[20:23], 0 offen lds               // 000000008A3C: E0511000 80050034
	s_add_u32 m0, 0x100, s49                                   // 000000008A44: 807C31FF 00000100
	v_mfma_f32_16x16x32_fp8_fp8 v[12:15], a[98:99], a[74:75], v[12:15]// 000000008A4C: D3F3000C 1C329562
	v_mfma_f32_16x16x32_fp8_fp8 v[12:15], a[100:101], a[76:77], v[12:15]// 000000008A54: D3F3000C 1C329964
	buffer_load_dword v53, s[20:23], 0 offen lds               // 000000008A5C: E0511000 80050035
	s_add_u32 m0, 0x200, s49                                   // 000000008A64: 807C31FF 00000200
	v_mfma_f32_16x16x32_fp8_fp8 v[12:15], a[102:103], a[78:79], v[12:15]// 000000008A6C: D3F3000C 1C329D66
	v_fma_f32 v76, v8, v4, v76                                 // 000000008A74: D1CB004C 05320908
	v_fma_f32 v77, v9, v4, v77                                 // 000000008A7C: D1CB004D 05360909
	v_fma_f32 v78, v10, v4, v78                                // 000000008A84: D1CB004E 053A090A
	v_fma_f32 v79, v11, v4, v79                                // 000000008A8C: D1CB004F 053E090B
	v_mul_f32_dpp v4, v24, v50 row_newbcast:0 row_mask:0xf bank_mask:0xf// 000000008A94: 0A0864FA FF015018
	v_mfma_f32_16x16x32_fp8_fp8 v[8:11], a[96:97], a[80:81], 0 // 000000008A9C: D3F30008 1A02A160
	buffer_load_dword v54, s[20:23], 0 offen lds               // 000000008AA4: E0511000 80050036
	s_add_u32 m0, 0x300, s49                                   // 000000008AAC: 807C31FF 00000300
	v_mfma_f32_16x16x32_fp8_fp8 v[8:11], a[98:99], a[82:83], v[8:11]// 000000008AB4: D3F30008 1C22A562
	v_mfma_f32_16x16x32_fp8_fp8 v[8:11], a[100:101], a[84:85], v[8:11]// 000000008ABC: D3F30008 1C22A964
	buffer_load_dword v55, s[20:23], 0 offen lds               // 000000008AC4: E0511000 80050037
	s_add_u32 m0, 0x400, s49                                   // 000000008ACC: 807C31FF 00000400
	v_mfma_f32_16x16x32_fp8_fp8 v[8:11], a[102:103], a[86:87], v[8:11]// 000000008AD4: D3F30008 1C22AD66
	v_fma_f32 v80, v12, v6, v80                                // 000000008ADC: D1CB0050 05420D0C
	v_fma_f32 v81, v13, v6, v81                                // 000000008AE4: D1CB0051 05460D0D
	v_fma_f32 v82, v14, v6, v82                                // 000000008AEC: D1CB0052 054A0D0E
	v_fma_f32 v83, v15, v6, v83                                // 000000008AF4: D1CB0053 054E0D0F
	v_mul_f32_dpp v6, v24, v51 row_newbcast:0 row_mask:0xf bank_mask:0xf// 000000008AFC: 0A0C66FA FF015018
	v_mfma_f32_16x16x32_fp8_fp8 v[12:15], a[96:97], a[88:89], 0// 000000008B04: D3F3000C 1A02B160
	buffer_load_dword v56, s[20:23], 0 offen lds               // 000000008B0C: E0511000 80050038
	s_add_u32 m0, 0x500, s49                                   // 000000008B14: 807C31FF 00000500
	v_mfma_f32_16x16x32_fp8_fp8 v[12:15], a[98:99], a[90:91], v[12:15]// 000000008B1C: D3F3000C 1C32B562
	v_mfma_f32_16x16x32_fp8_fp8 v[12:15], a[100:101], a[92:93], v[12:15]// 000000008B24: D3F3000C 1C32B964
	buffer_load_dword v57, s[20:23], 0 offen lds               // 000000008B2C: E0511000 80050039
	s_add_u32 m0, 0x600, s49                                   // 000000008B34: 807C31FF 00000600
	v_mfma_f32_16x16x32_fp8_fp8 v[12:15], a[102:103], a[94:95], v[12:15]// 000000008B3C: D3F3000C 1C32BD66
	v_fma_f32 v84, v8, v4, v84                                 // 000000008B44: D1CB0054 05520908
	v_fma_f32 v85, v9, v4, v85                                 // 000000008B4C: D1CB0055 05560909
	v_fma_f32 v86, v10, v4, v86                                // 000000008B54: D1CB0056 055A090A
	v_fma_f32 v87, v11, v4, v87                                // 000000008B5C: D1CB0057 055E090B
	s_waitcnt vmcnt(11)                                        // 000000008B64: BF8C0F7B
	v_mul_f32_dpp v4, v24, v46 row_newbcast:0 row_mask:0xf bank_mask:0xf// 000000008B68: 0A085CFA FF015018
	v_mfma_f32_16x16x32_fp8_fp8 v[8:11], a[104:105], a[48:49], 0// 000000008B70: D3F30008 1A026168
	buffer_load_dword v58, s[20:23], 0 offen lds               // 000000008B78: E0511000 8005003A
	s_add_u32 m0, 0x700, s49                                   // 000000008B80: 807C31FF 00000700
	v_mfma_f32_16x16x32_fp8_fp8 v[8:11], a[106:107], a[50:51], v[8:11]// 000000008B88: D3F30008 1C22656A
	v_mfma_f32_16x16x32_fp8_fp8 v[8:11], a[108:109], a[52:53], v[8:11]// 000000008B90: D3F30008 1C22696C
	buffer_load_dword v59, s[20:23], 0 offen lds               // 000000008B98: E0511000 8005003B
	s_add_u32 m0, 0x800, s49                                   // 000000008BA0: 807C31FF 00000800
	v_mfma_f32_16x16x32_fp8_fp8 v[8:11], a[110:111], a[54:55], v[8:11]// 000000008BA8: D3F30008 1C226D6E
	v_fma_f32 v88, v12, v6, v88                                // 000000008BB0: D1CB0058 05620D0C
	v_fma_f32 v89, v13, v6, v89                                // 000000008BB8: D1CB0059 05660D0D
	v_fma_f32 v90, v14, v6, v90                                // 000000008BC0: D1CB005A 056A0D0E
	v_fma_f32 v91, v15, v6, v91                                // 000000008BC8: D1CB005B 056E0D0F
	v_mul_f32_dpp v6, v24, v47 row_newbcast:0 row_mask:0xf bank_mask:0xf// 000000008BD0: 0A0C5EFA FF015018
	v_mfma_f32_16x16x32_fp8_fp8 v[12:15], a[104:105], a[56:57], 0// 000000008BD8: D3F3000C 1A027168
	buffer_load_dword v60, s[20:23], 0 offen lds               // 000000008BE0: E0511000 8005003C
	s_add_u32 m0, 0x900, s49                                   // 000000008BE8: 807C31FF 00000900
	v_mfma_f32_16x16x32_fp8_fp8 v[12:15], a[106:107], a[58:59], v[12:15]// 000000008BF0: D3F3000C 1C32756A
	v_mfma_f32_16x16x32_fp8_fp8 v[12:15], a[108:109], a[60:61], v[12:15]// 000000008BF8: D3F3000C 1C32796C
	buffer_load_dword v61, s[20:23], 0 offen lds               // 000000008C00: E0511000 8005003D
	s_add_u32 m0, 0xa00, s49                                   // 000000008C08: 807C31FF 00000A00
	v_mfma_f32_16x16x32_fp8_fp8 v[12:15], a[110:111], a[62:63], v[12:15]// 000000008C10: D3F3000C 1C327D6E
	v_fma_f32 v92, v8, v4, v92                                 // 000000008C18: D1CB005C 05720908
	v_fma_f32 v93, v9, v4, v93                                 // 000000008C20: D1CB005D 05760909
	v_fma_f32 v94, v10, v4, v94                                // 000000008C28: D1CB005E 057A090A
	v_fma_f32 v95, v11, v4, v95                                // 000000008C30: D1CB005F 057E090B
	v_mul_f32_dpp v4, v24, v48 row_newbcast:0 row_mask:0xf bank_mask:0xf// 000000008C38: 0A0860FA FF015018
	v_mfma_f32_16x16x32_fp8_fp8 v[8:11], a[104:105], a[64:65], 0// 000000008C40: D3F30008 1A028168
	buffer_load_dword v62, s[20:23], 0 offen lds               // 000000008C48: E0511000 8005003E
	s_add_u32 m0, 0xb00, s49                                   // 000000008C50: 807C31FF 00000B00
	v_mfma_f32_16x16x32_fp8_fp8 v[8:11], a[106:107], a[66:67], v[8:11]// 000000008C58: D3F30008 1C22856A
	v_mfma_f32_16x16x32_fp8_fp8 v[8:11], a[108:109], a[68:69], v[8:11]// 000000008C60: D3F30008 1C22896C
	buffer_load_dword v63, s[20:23], 0 offen lds               // 000000008C68: E0511000 8005003F
	s_add_u32 m0, 0, s48                                       // 000000008C70: 807C3080
	v_mfma_f32_16x16x32_fp8_fp8 v[8:11], a[110:111], a[70:71], v[8:11]// 000000008C74: D3F30008 1C228D6E
	v_fma_f32 v96, v12, v6, v96                                // 000000008C7C: D1CB0060 05820D0C
	v_fma_f32 v97, v13, v6, v97                                // 000000008C84: D1CB0061 05860D0D
	v_fma_f32 v98, v14, v6, v98                                // 000000008C8C: D1CB0062 058A0D0E
	v_fma_f32 v99, v15, v6, v99                                // 000000008C94: D1CB0063 058E0D0F
	v_mul_f32_dpp v6, v24, v49 row_newbcast:0 row_mask:0xf bank_mask:0xf// 000000008C9C: 0A0C62FA FF015018
	v_mfma_f32_16x16x32_fp8_fp8 v[12:15], a[104:105], a[72:73], 0// 000000008CA4: D3F3000C 1A029168
	buffer_load_dword v40, v28, s[28:31], 0 offen              // 000000008CAC: E0501000 8007281C
	v_mfma_f32_16x16x32_fp8_fp8 v[12:15], a[106:107], a[74:75], v[12:15]// 000000008CB4: D3F3000C 1C32956A
	v_mfma_f32_16x16x32_fp8_fp8 v[12:15], a[108:109], a[76:77], v[12:15]// 000000008CBC: D3F3000C 1C32996C
	buffer_load_dword v41, v29, s[28:31], 0 offen              // 000000008CC4: E0501000 8007291D
	v_mfma_f32_16x16x32_fp8_fp8 v[12:15], a[110:111], a[78:79], v[12:15]// 000000008CCC: D3F3000C 1C329D6E
	v_fma_f32 v100, v8, v4, v100                               // 000000008CD4: D1CB0064 05920908
	v_fma_f32 v101, v9, v4, v101                               // 000000008CDC: D1CB0065 05960909
	v_fma_f32 v102, v10, v4, v102                              // 000000008CE4: D1CB0066 059A090A
	v_fma_f32 v103, v11, v4, v103                              // 000000008CEC: D1CB0067 059E090B
	v_mul_f32_dpp v4, v24, v50 row_newbcast:0 row_mask:0xf bank_mask:0xf// 000000008CF4: 0A0864FA FF015018
	v_mfma_f32_16x16x32_fp8_fp8 v[8:11], a[104:105], a[80:81], 0// 000000008CFC: D3F30008 1A02A168
	buffer_load_dword v42, v30, s[28:31], 0 offen              // 000000008D04: E0501000 80072A1E
	v_mfma_f32_16x16x32_fp8_fp8 v[8:11], a[106:107], a[82:83], v[8:11]// 000000008D0C: D3F30008 1C22A56A
	v_mfma_f32_16x16x32_fp8_fp8 v[8:11], a[108:109], a[84:85], v[8:11]// 000000008D14: D3F30008 1C22A96C
	buffer_load_dword v43, v31, s[28:31], 0 offen              // 000000008D1C: E0501000 80072B1F
	v_mfma_f32_16x16x32_fp8_fp8 v[8:11], a[110:111], a[86:87], v[8:11]// 000000008D24: D3F30008 1C22AD6E
	v_fma_f32 v104, v12, v6, v104                              // 000000008D2C: D1CB0068 05A20D0C
	v_fma_f32 v105, v13, v6, v105                              // 000000008D34: D1CB0069 05A60D0D
	v_fma_f32 v106, v14, v6, v106                              // 000000008D3C: D1CB006A 05AA0D0E
	v_fma_f32 v107, v15, v6, v107                              // 000000008D44: D1CB006B 05AE0D0F
	v_mul_f32_dpp v6, v24, v51 row_newbcast:0 row_mask:0xf bank_mask:0xf// 000000008D4C: 0A0C66FA FF015018
	v_mfma_f32_16x16x32_fp8_fp8 v[12:15], a[104:105], a[88:89], 0// 000000008D54: D3F3000C 1A02B168
	buffer_load_dword v44, v32, s[28:31], 0 offen              // 000000008D5C: E0501000 80072C20
	v_mfma_f32_16x16x32_fp8_fp8 v[12:15], a[106:107], a[90:91], v[12:15]// 000000008D64: D3F3000C 1C32B56A
	s_add_u32 s60, 0x80, s80                                   // 000000008D6C: 803C50FF 00000080
	s_cmp_lt_u32 s60, s81                                      // 000000008D74: BF0A513C
	s_cselect_b32 s83, s83, 0                                  // 000000008D78: 85538053
	s_cselect_b32 s4, s4, 0                                    // 000000008D7C: 85048004
	v_mfma_f32_16x16x32_fp8_fp8 v[12:15], a[108:109], a[92:93], v[12:15]// 000000008D80: D3F3000C 1C32B96C
	buffer_load_dword v45, v33, s[28:31], 0 offen              // 000000008D88: E0501000 80072D21
	s_add_u32 s32, s4, s32                                     // 000000008D90: 80202004
	s_addc_u32 s33, 0, s33                                     // 000000008D94: 82212180
	v_mfma_f32_16x16x32_fp8_fp8 v[12:15], a[110:111], a[94:95], v[12:15]// 000000008D98: D3F3000C 1C32BD6E
	v_fma_f32 v108, v8, v4, v108                               // 000000008DA0: D1CB006C 05B20908
	v_fma_f32 v109, v9, v4, v109                               // 000000008DA8: D1CB006D 05B60909
	v_fma_f32 v110, v10, v4, v110                              // 000000008DB0: D1CB006E 05BA090A
	v_fma_f32 v111, v11, v4, v111                              // 000000008DB8: D1CB006F 05BE090B
	v_fma_f32 v112, v12, v6, v112                              // 000000008DC0: D1CB0070 05C20D0C
	v_fma_f32 v113, v13, v6, v113                              // 000000008DC8: D1CB0071 05C60D0D
	v_fma_f32 v114, v14, v6, v114                              // 000000008DD0: D1CB0072 05CA0D0E
	v_fma_f32 v115, v15, v6, v115                              // 000000008DD8: D1CB0073 05CE0D0F
	s_waitcnt vmcnt(18)                                        // 000000008DE0: BF8C4F72
	v_mul_f32_dpp v4, v27, v46 row_newbcast:0 row_mask:0xf bank_mask:0xf// 000000008DE4: 0A085CFA FF01501B
	v_mfma_f32_16x16x32_fp8_fp8 v[8:11], a[112:113], a[48:49], 0// 000000008DEC: D3F30008 1A026170
	buffer_load_dword v24, v22, s[32:35], 0 offen              // 000000008DF4: E0501000 80081816
	buffer_load_dwordx4 a[96:99], v64, s[24:27], 0 offen       // 000000008DFC: E05C1000 80866040
	v_mfma_f32_16x16x32_fp8_fp8 v[8:11], a[114:115], a[50:51], v[8:11]// 000000008E04: D3F30008 1C226572
	v_mfma_f32_16x16x32_fp8_fp8 v[8:11], a[116:117], a[52:53], v[8:11]// 000000008E0C: D3F30008 1C226974
	ds_read_b128 a[0:3], v2                                    // 000000008E14: DBFE0000 00000002
	ds_read_b128 a[4:7], v2 offset:64                          // 000000008E1C: DBFE0040 04000002
	v_mfma_f32_16x16x32_fp8_fp8 v[8:11], a[118:119], a[54:55], v[8:11]// 000000008E24: D3F30008 1C226D76
	v_mfma_f32_16x16x32_fp8_fp8 v[12:15], a[120:121], a[48:49], 0// 000000008E2C: D3F3000C 1A026178
	buffer_load_dwordx4 a[100:103], v64, s[24:27], 0 offen offset:1024// 000000008E34: E05C1400 80866440
	v_mfma_f32_16x16x32_fp8_fp8 v[12:15], a[122:123], a[50:51], v[12:15]// 000000008E3C: D3F3000C 1C32657A
	v_mfma_f32_16x16x32_fp8_fp8 v[12:15], a[124:125], a[52:53], v[12:15]// 000000008E44: D3F3000C 1C32697C
	ds_read_b128 a[8:11], v2 offset:512                        // 000000008E4C: DBFE0200 08000002
	ds_read_b128 a[12:15], v2 offset:576                       // 000000008E54: DBFE0240 0C000002
	v_mfma_f32_16x16x32_fp8_fp8 v[12:15], a[126:127], a[54:55], v[12:15]// 000000008E5C: D3F3000C 1C326D7E
	v_fma_f32 v116, v8, v4, v116                               // 000000008E64: D1CB0074 05D20908
	v_fma_f32 v117, v9, v4, v117                               // 000000008E6C: D1CB0075 05D60909
	v_fma_f32 v118, v10, v4, v118                              // 000000008E74: D1CB0076 05DA090A
	v_fma_f32 v119, v11, v4, v119                              // 000000008E7C: D1CB0077 05DE090B
	v_mul_f32_dpp v6, v27, v47 row_newbcast:0 row_mask:0xf bank_mask:0xf// 000000008E84: 0A0C5EFA FF01501B
	v_mfma_f32_16x16x32_fp8_fp8 v[8:11], a[112:113], a[56:57], 0// 000000008E8C: D3F30008 1A027170
	buffer_load_dwordx4 a[104:107], v65, s[24:27], 0 offen     // 000000008E94: E05C1000 80866841
	v_mfma_f32_16x16x32_fp8_fp8 v[8:11], a[114:115], a[58:59], v[8:11]// 000000008E9C: D3F30008 1C227572
	v_mfma_f32_16x16x32_fp8_fp8 v[8:11], a[116:117], a[60:61], v[8:11]// 000000008EA4: D3F30008 1C227974
	ds_read_b128 a[16:19], v2 offset:1024                      // 000000008EAC: DBFE0400 10000002
	ds_read_b128 a[20:23], v2 offset:1088                      // 000000008EB4: DBFE0440 14000002
	v_mfma_f32_16x16x32_fp8_fp8 v[8:11], a[118:119], a[62:63], v[8:11]// 000000008EBC: D3F30008 1C227D76
	v_fma_f32 v140, v12, v4, v140                              // 000000008EC4: D1CB008C 0632090C
	v_fma_f32 v141, v13, v4, v141                              // 000000008ECC: D1CB008D 0636090D
	v_fma_f32 v142, v14, v4, v142                              // 000000008ED4: D1CB008E 063A090E
	v_fma_f32 v143, v15, v4, v143                              // 000000008EDC: D1CB008F 063E090F
	v_mfma_f32_16x16x32_fp8_fp8 v[12:15], a[120:121], a[56:57], 0// 000000008EE4: D3F3000C 1A027178
	buffer_load_dwordx4 a[108:111], v65, s[24:27], 0 offen offset:1024// 000000008EEC: E05C1400 80866C41
	v_mfma_f32_16x16x32_fp8_fp8 v[12:15], a[122:123], a[58:59], v[12:15]// 000000008EF4: D3F3000C 1C32757A
	v_mfma_f32_16x16x32_fp8_fp8 v[12:15], a[124:125], a[60:61], v[12:15]// 000000008EFC: D3F3000C 1C32797C
	ds_read_b128 a[24:27], v2 offset:1536                      // 000000008F04: DBFE0600 18000002
	ds_read_b128 a[28:31], v2 offset:1600                      // 000000008F0C: DBFE0640 1C000002
	v_mfma_f32_16x16x32_fp8_fp8 v[12:15], a[126:127], a[62:63], v[12:15]// 000000008F14: D3F3000C 1C327D7E
	v_fma_f32 v120, v8, v6, v120                               // 000000008F1C: D1CB0078 05E20D08
	v_fma_f32 v121, v9, v6, v121                               // 000000008F24: D1CB0079 05E60D09
	v_fma_f32 v122, v10, v6, v122                              // 000000008F2C: D1CB007A 05EA0D0A
	v_fma_f32 v123, v11, v6, v123                              // 000000008F34: D1CB007B 05EE0D0B
	v_mul_f32_dpp v4, v27, v48 row_newbcast:0 row_mask:0xf bank_mask:0xf// 000000008F3C: 0A0860FA FF01501B
	v_mfma_f32_16x16x32_fp8_fp8 v[8:11], a[112:113], a[64:65], 0// 000000008F44: D3F30008 1A028170
	v_mfma_f32_16x16x32_fp8_fp8 v[8:11], a[114:115], a[66:67], v[8:11]// 000000008F4C: D3F30008 1C228572
	v_mfma_f32_16x16x32_fp8_fp8 v[8:11], a[116:117], a[68:69], v[8:11]// 000000008F54: D3F30008 1C228974
	ds_read_b128 a[32:35], v2 offset:2048                      // 000000008F5C: DBFE0800 20000002
	ds_read_b128 a[36:39], v2 offset:2112                      // 000000008F64: DBFE0840 24000002
	v_mfma_f32_16x16x32_fp8_fp8 v[8:11], a[118:119], a[70:71], v[8:11]// 000000008F6C: D3F30008 1C228D76
	v_fma_f32 v144, v12, v6, v144                              // 000000008F74: D1CB0090 06420D0C
	v_fma_f32 v145, v13, v6, v145                              // 000000008F7C: D1CB0091 06460D0D
	v_fma_f32 v146, v14, v6, v146                              // 000000008F84: D1CB0092 064A0D0E
	v_fma_f32 v147, v15, v6, v147                              // 000000008F8C: D1CB0093 064E0D0F
	v_mfma_f32_16x16x32_fp8_fp8 v[12:15], a[120:121], a[64:65], 0// 000000008F94: D3F3000C 1A028178
	v_mfma_f32_16x16x32_fp8_fp8 v[12:15], a[122:123], a[66:67], v[12:15]// 000000008F9C: D3F3000C 1C32857A
	v_mfma_f32_16x16x32_fp8_fp8 v[12:15], a[124:125], a[68:69], v[12:15]// 000000008FA4: D3F3000C 1C32897C
	ds_read_b128 a[40:43], v2 offset:2560                      // 000000008FAC: DBFE0A00 28000002
	ds_read_b128 a[44:47], v2 offset:2624                      // 000000008FB4: DBFE0A40 2C000002
	v_mfma_f32_16x16x32_fp8_fp8 v[12:15], a[126:127], a[70:71], v[12:15]// 000000008FBC: D3F3000C 1C328D7E
	v_fma_f32 v124, v8, v4, v124                               // 000000008FC4: D1CB007C 05F20908
	v_fma_f32 v125, v9, v4, v125                               // 000000008FCC: D1CB007D 05F60909
	v_fma_f32 v126, v10, v4, v126                              // 000000008FD4: D1CB007E 05FA090A
	v_fma_f32 v127, v11, v4, v127                              // 000000008FDC: D1CB007F 05FE090B
	v_mul_f32_dpp v6, v27, v49 row_newbcast:0 row_mask:0xf bank_mask:0xf// 000000008FE4: 0A0C62FA FF01501B
	v_mfma_f32_16x16x32_fp8_fp8 v[8:11], a[112:113], a[72:73], 0// 000000008FEC: D3F30008 1A029170
	v_mfma_f32_16x16x32_fp8_fp8 v[8:11], a[114:115], a[74:75], v[8:11]// 000000008FF4: D3F30008 1C229572
	v_mfma_f32_16x16x32_fp8_fp8 v[8:11], a[116:117], a[76:77], v[8:11]// 000000008FFC: D3F30008 1C229974
	v_mfma_f32_16x16x32_fp8_fp8 v[8:11], a[118:119], a[78:79], v[8:11]// 000000009004: D3F30008 1C229D76
	v_fma_f32 v148, v12, v4, v148                              // 00000000900C: D1CB0094 0652090C
	v_fma_f32 v149, v13, v4, v149                              // 000000009014: D1CB0095 0656090D
	v_fma_f32 v150, v14, v4, v150                              // 00000000901C: D1CB0096 065A090E
	v_fma_f32 v151, v15, v4, v151                              // 000000009024: D1CB0097 065E090F
	v_mfma_f32_16x16x32_fp8_fp8 v[12:15], a[120:121], a[72:73], 0// 00000000902C: D3F3000C 1A029178
	v_mfma_f32_16x16x32_fp8_fp8 v[12:15], a[122:123], a[74:75], v[12:15]// 000000009034: D3F3000C 1C32957A
	v_mfma_f32_16x16x32_fp8_fp8 v[12:15], a[124:125], a[76:77], v[12:15]// 00000000903C: D3F3000C 1C32997C
	v_mfma_f32_16x16x32_fp8_fp8 v[12:15], a[126:127], a[78:79], v[12:15]// 000000009044: D3F3000C 1C329D7E
	v_fma_f32 v128, v8, v6, v128                               // 00000000904C: D1CB0080 06020D08
	v_fma_f32 v129, v9, v6, v129                               // 000000009054: D1CB0081 06060D09
	v_fma_f32 v130, v10, v6, v130                              // 00000000905C: D1CB0082 060A0D0A
	v_fma_f32 v131, v11, v6, v131                              // 000000009064: D1CB0083 060E0D0B
	v_mul_f32_dpp v4, v27, v50 row_newbcast:0 row_mask:0xf bank_mask:0xf// 00000000906C: 0A0864FA FF01501B
	v_mfma_f32_16x16x32_fp8_fp8 v[8:11], a[112:113], a[80:81], 0// 000000009074: D3F30008 1A02A170
	v_mfma_f32_16x16x32_fp8_fp8 v[8:11], a[114:115], a[82:83], v[8:11]// 00000000907C: D3F30008 1C22A572
	v_mfma_f32_16x16x32_fp8_fp8 v[8:11], a[116:117], a[84:85], v[8:11]// 000000009084: D3F30008 1C22A974
	v_mfma_f32_16x16x32_fp8_fp8 v[8:11], a[118:119], a[86:87], v[8:11]// 00000000908C: D3F30008 1C22AD76
	v_fma_f32 v152, v12, v6, v152                              // 000000009094: D1CB0098 06620D0C
	v_fma_f32 v153, v13, v6, v153                              // 00000000909C: D1CB0099 06660D0D
	v_fma_f32 v154, v14, v6, v154                              // 0000000090A4: D1CB009A 066A0D0E
	v_fma_f32 v155, v15, v6, v155                              // 0000000090AC: D1CB009B 066E0D0F
	v_mfma_f32_16x16x32_fp8_fp8 v[12:15], a[120:121], a[80:81], 0// 0000000090B4: D3F3000C 1A02A178
	v_mfma_f32_16x16x32_fp8_fp8 v[12:15], a[122:123], a[82:83], v[12:15]// 0000000090BC: D3F3000C 1C32A57A
	v_mfma_f32_16x16x32_fp8_fp8 v[12:15], a[124:125], a[84:85], v[12:15]// 0000000090C4: D3F3000C 1C32A97C
	v_mfma_f32_16x16x32_fp8_fp8 v[12:15], a[126:127], a[86:87], v[12:15]// 0000000090CC: D3F3000C 1C32AD7E
	v_fma_f32 v132, v8, v4, v132                               // 0000000090D4: D1CB0084 06120908
	v_fma_f32 v133, v9, v4, v133                               // 0000000090DC: D1CB0085 06160909
	v_fma_f32 v134, v10, v4, v134                              // 0000000090E4: D1CB0086 061A090A
	v_fma_f32 v135, v11, v4, v135                              // 0000000090EC: D1CB0087 061E090B
	v_mul_f32_dpp v6, v27, v51 row_newbcast:0 row_mask:0xf bank_mask:0xf// 0000000090F4: 0A0C66FA FF01501B
	v_mfma_f32_16x16x32_fp8_fp8 v[8:11], a[112:113], a[88:89], 0// 0000000090FC: D3F30008 1A02B170
	v_mfma_f32_16x16x32_fp8_fp8 v[8:11], a[114:115], a[90:91], v[8:11]// 000000009104: D3F30008 1C22B572
	v_mfma_f32_16x16x32_fp8_fp8 v[8:11], a[116:117], a[92:93], v[8:11]// 00000000910C: D3F30008 1C22B974
	s_add_u32 s60, 0x180, s80                                  // 000000009114: 803C50FF 00000180
	s_cmp_lt_u32 s60, s81                                      // 00000000911C: BF0A513C
	s_cselect_b32 s57, s57, 0                                  // 000000009120: 85398039
	s_cselect_b32 s3, s3, 0                                    // 000000009124: 85038003
	v_mfma_f32_16x16x32_fp8_fp8 v[8:11], a[118:119], a[94:95], v[8:11]// 000000009128: D3F30008 1C22BD76
	s_add_u32 s60, 0x100, s80                                  // 000000009130: 803C50FF 00000100
	s_cmp_lt_u32 s60, s81                                      // 000000009138: BF0A513C
	s_cselect_b32 s58, s58, 0                                  // 00000000913C: 853A803A
	v_fma_f32 v156, v12, v4, v156                              // 000000009140: D1CB009C 0672090C
	v_fma_f32 v157, v13, v4, v157                              // 000000009148: D1CB009D 0676090D
	v_fma_f32 v158, v14, v4, v158                              // 000000009150: D1CB009E 067A090E
	v_fma_f32 v159, v15, v4, v159                              // 000000009158: D1CB009F 067E090F
	v_mfma_f32_16x16x32_fp8_fp8 v[12:15], a[120:121], a[88:89], 0// 000000009160: D3F3000C 1A02B178
	s_add_u32 s24, s58, s24                                    // 000000009168: 8018183A
	s_addc_u32 s25, 0, s25                                     // 00000000916C: 82191980
	v_mfma_f32_16x16x32_fp8_fp8 v[12:15], a[122:123], a[90:91], v[12:15]// 000000009170: D3F3000C 1C32B57A
	s_add_u32 s20, s57, s20                                    // 000000009178: 80141439
	s_addc_u32 s21, 0, s21                                     // 00000000917C: 82151580
	s_add_u32 s28, s3, s28                                     // 000000009180: 801C1C03
	s_addc_u32 s29, 0, s29                                     // 000000009184: 821D1D80
	v_mfma_f32_16x16x32_fp8_fp8 v[12:15], a[124:125], a[92:93], v[12:15]// 000000009188: D3F3000C 1C32B97C
	s_add_u32 s84, s83, s84                                    // 000000009190: 80545453
	s_addc_u32 s85, 0, s85                                     // 000000009194: 82555580
	v_mfma_f32_16x16x32_fp8_fp8 v[12:15], a[126:127], a[94:95], v[12:15]// 000000009198: D3F3000C 1C32BD7E
	v_fma_f32 v136, v8, v6, v136                               // 0000000091A0: D1CB0088 06220D08
	v_fma_f32 v137, v9, v6, v137                               // 0000000091A8: D1CB0089 06260D09
	v_fma_f32 v138, v10, v6, v138                              // 0000000091B0: D1CB008A 062A0D0A
	v_fma_f32 v139, v11, v6, v139                              // 0000000091B8: D1CB008B 062E0D0B
	v_fma_f32 v160, v12, v6, v160                              // 0000000091C0: D1CB00A0 06820D0C
	v_fma_f32 v161, v13, v6, v161                              // 0000000091C8: D1CB00A1 06860D0D
	v_fma_f32 v162, v14, v6, v162                              // 0000000091D0: D1CB00A2 068A0D0E
	v_fma_f32 v163, v15, v6, v163                              // 0000000091D8: D1CB00A3 068E0D0F
	s_addk_i32 s80, 0x80                                       // 0000000091E0: B7500080
	s_cmp_lt_i32 s80, s81                                      // 0000000091E4: BF045150
	s_cbranch_scc0 label_19FF                                  // 0000000091E8: BF840001
	s_branch label_159E                                        // 0000000091EC: BF82FB9F

00000000000091f0 <label_19FF>:
	s_cmp_eq_u32 s88, 0                                        // 0000000091F0: BF068058
	s_cbranch_scc0 label_221A                                  // 0000000091F4: BF840819
	s_cmp_eq_u32 s89, 0                                        // 0000000091F8: BF068059
	s_cbranch_scc1 label_1BE8                                  // 0000000091FC: BF8501E5
	v_mov_b32_e32 v8, v1                                       // 000000009200: 7E100301
	v_mov_b32_e32 v9, v1                                       // 000000009204: 7E120301
	s_mov_b32 s60, s6                                          // 000000009208: BEBC0006
	s_mov_b32 s61, s6                                          // 00000000920C: BEBD0006
	v_pk_mul_f32 v[4:5], v[68:69], v[68:69]                    // 000000009210: D3B14004 18028944
	v_pk_mul_f32 v[6:7], v[70:71], v[70:71]                    // 000000009218: D3B14006 18028D46
	v_pk_fma_f32 v[4:5], v[4:5], s[78:79], v[8:9]              // 000000009220: D3B04004 1C209D04
	v_pk_fma_f32 v[6:7], v[6:7], s[78:79], v[8:9]              // 000000009228: D3B04006 1C209D06
	v_pk_mul_f32 v[4:5], v[4:5], v[68:69]                      // 000000009230: D3B14004 18028904
	v_pk_mul_f32 v[6:7], v[6:7], v[70:71]                      // 000000009238: D3B14006 18028D06
	v_pk_mul_f32 v[4:5], v[4:5], s[60:61]                      // 000000009240: D3B14004 18007904
	v_pk_mul_f32 v[6:7], v[6:7], s[60:61]                      // 000000009248: D3B14006 18007906
	v_exp_f32_e32 v4, v4                                       // 000000009250: 7E084104
	v_exp_f32_e32 v5, v5                                       // 000000009254: 7E0A4105
	v_exp_f32_e32 v6, v6                                       // 000000009258: 7E0C4106
	v_exp_f32_e32 v7, v7                                       // 00000000925C: 7E0E4107
	v_add_f32_e64 v4, v4, 1.0                                  // 000000009260: D1010004 0001E504
	v_add_f32_e64 v5, v5, 1.0                                  // 000000009268: D1010005 0001E505
	v_add_f32_e64 v6, v6, 1.0                                  // 000000009270: D1010006 0001E506
	v_add_f32_e64 v7, v7, 1.0                                  // 000000009278: D1010007 0001E507
	v_rcp_f32_e32 v4, v4                                       // 000000009280: 7E084504
	v_rcp_f32_e32 v5, v5                                       // 000000009284: 7E0A4505
	v_rcp_f32_e32 v6, v6                                       // 000000009288: 7E0C4506
	v_rcp_f32_e32 v7, v7                                       // 00000000928C: 7E0E4507
	v_mul_f32_e32 v68, v68, v4                                 // 000000009290: 0A880944
	v_mul_f32_e32 v69, v69, v5                                 // 000000009294: 0A8A0B45
	v_mul_f32_e32 v70, v70, v6                                 // 000000009298: 0A8C0D46
	v_mul_f32_e32 v71, v71, v7                                 // 00000000929C: 0A8E0F47
	v_mul_f32_e32 v68, v68, v116                               // 0000000092A0: 0A88E944
	v_mul_f32_e32 v69, v69, v117                               // 0000000092A4: 0A8AEB45
	v_mul_f32_e32 v70, v70, v118                               // 0000000092A8: 0A8CED46
	v_mul_f32_e32 v71, v71, v119                               // 0000000092AC: 0A8EEF47
	v_pk_mul_f32 v[4:5], v[72:73], v[72:73]                    // 0000000092B0: D3B14004 18029148
	v_pk_mul_f32 v[6:7], v[74:75], v[74:75]                    // 0000000092B8: D3B14006 1802954A
	v_pk_fma_f32 v[4:5], v[4:5], s[78:79], v[8:9]              // 0000000092C0: D3B04004 1C209D04
	v_pk_fma_f32 v[6:7], v[6:7], s[78:79], v[8:9]              // 0000000092C8: D3B04006 1C209D06
	v_pk_mul_f32 v[4:5], v[4:5], v[72:73]                      // 0000000092D0: D3B14004 18029104
	v_pk_mul_f32 v[6:7], v[6:7], v[74:75]                      // 0000000092D8: D3B14006 18029506
	v_pk_mul_f32 v[4:5], v[4:5], s[60:61]                      // 0000000092E0: D3B14004 18007904
	v_pk_mul_f32 v[6:7], v[6:7], s[60:61]                      // 0000000092E8: D3B14006 18007906
	v_exp_f32_e32 v4, v4                                       // 0000000092F0: 7E084104
	v_exp_f32_e32 v5, v5                                       // 0000000092F4: 7E0A4105
	v_exp_f32_e32 v6, v6                                       // 0000000092F8: 7E0C4106
	v_exp_f32_e32 v7, v7                                       // 0000000092FC: 7E0E4107
	v_add_f32_e64 v4, v4, 1.0                                  // 000000009300: D1010004 0001E504
	v_add_f32_e64 v5, v5, 1.0                                  // 000000009308: D1010005 0001E505
	v_add_f32_e64 v6, v6, 1.0                                  // 000000009310: D1010006 0001E506
	v_add_f32_e64 v7, v7, 1.0                                  // 000000009318: D1010007 0001E507
	v_rcp_f32_e32 v4, v4                                       // 000000009320: 7E084504
	v_rcp_f32_e32 v5, v5                                       // 000000009324: 7E0A4505
	v_rcp_f32_e32 v6, v6                                       // 000000009328: 7E0C4506
	v_rcp_f32_e32 v7, v7                                       // 00000000932C: 7E0E4507
	v_mul_f32_e32 v72, v72, v4                                 // 000000009330: 0A900948
	v_mul_f32_e32 v73, v73, v5                                 // 000000009334: 0A920B49
	v_mul_f32_e32 v74, v74, v6                                 // 000000009338: 0A940D4A
	v_mul_f32_e32 v75, v75, v7                                 // 00000000933C: 0A960F4B
	v_mul_f32_e32 v72, v72, v120                               // 000000009340: 0A90F148
	v_mul_f32_e32 v73, v73, v121                               // 000000009344: 0A92F349
	v_mul_f32_e32 v74, v74, v122                               // 000000009348: 0A94F54A
	v_mul_f32_e32 v75, v75, v123                               // 00000000934C: 0A96F74B
	v_pk_mul_f32 v[4:5], v[76:77], v[76:77]                    // 000000009350: D3B14004 1802994C
	v_pk_mul_f32 v[6:7], v[78:79], v[78:79]                    // 000000009358: D3B14006 18029D4E
	v_pk_fma_f32 v[4:5], v[4:5], s[78:79], v[8:9]              // 000000009360: D3B04004 1C209D04
	v_pk_fma_f32 v[6:7], v[6:7], s[78:79], v[8:9]              // 000000009368: D3B04006 1C209D06
	v_pk_mul_f32 v[4:5], v[4:5], v[76:77]                      // 000000009370: D3B14004 18029904
	v_pk_mul_f32 v[6:7], v[6:7], v[78:79]                      // 000000009378: D3B14006 18029D06
	v_pk_mul_f32 v[4:5], v[4:5], s[60:61]                      // 000000009380: D3B14004 18007904
	v_pk_mul_f32 v[6:7], v[6:7], s[60:61]                      // 000000009388: D3B14006 18007906
	v_exp_f32_e32 v4, v4                                       // 000000009390: 7E084104
	v_exp_f32_e32 v5, v5                                       // 000000009394: 7E0A4105
	v_exp_f32_e32 v6, v6                                       // 000000009398: 7E0C4106
	v_exp_f32_e32 v7, v7                                       // 00000000939C: 7E0E4107
	v_add_f32_e64 v4, v4, 1.0                                  // 0000000093A0: D1010004 0001E504
	v_add_f32_e64 v5, v5, 1.0                                  // 0000000093A8: D1010005 0001E505
	v_add_f32_e64 v6, v6, 1.0                                  // 0000000093B0: D1010006 0001E506
	v_add_f32_e64 v7, v7, 1.0                                  // 0000000093B8: D1010007 0001E507
	v_rcp_f32_e32 v4, v4                                       // 0000000093C0: 7E084504
	v_rcp_f32_e32 v5, v5                                       // 0000000093C4: 7E0A4505
	v_rcp_f32_e32 v6, v6                                       // 0000000093C8: 7E0C4506
	v_rcp_f32_e32 v7, v7                                       // 0000000093CC: 7E0E4507
	v_mul_f32_e32 v76, v76, v4                                 // 0000000093D0: 0A98094C
	v_mul_f32_e32 v77, v77, v5                                 // 0000000093D4: 0A9A0B4D
	v_mul_f32_e32 v78, v78, v6                                 // 0000000093D8: 0A9C0D4E
	v_mul_f32_e32 v79, v79, v7                                 // 0000000093DC: 0A9E0F4F
	v_mul_f32_e32 v76, v76, v124                               // 0000000093E0: 0A98F94C
	v_mul_f32_e32 v77, v77, v125                               // 0000000093E4: 0A9AFB4D
	v_mul_f32_e32 v78, v78, v126                               // 0000000093E8: 0A9CFD4E
	v_mul_f32_e32 v79, v79, v127                               // 0000000093EC: 0A9EFF4F
	v_pk_mul_f32 v[4:5], v[80:81], v[80:81]                    // 0000000093F0: D3B14004 1802A150
	v_pk_mul_f32 v[6:7], v[82:83], v[82:83]                    // 0000000093F8: D3B14006 1802A552
	v_pk_fma_f32 v[4:5], v[4:5], s[78:79], v[8:9]              // 000000009400: D3B04004 1C209D04
	v_pk_fma_f32 v[6:7], v[6:7], s[78:79], v[8:9]              // 000000009408: D3B04006 1C209D06
	v_pk_mul_f32 v[4:5], v[4:5], v[80:81]                      // 000000009410: D3B14004 1802A104
	v_pk_mul_f32 v[6:7], v[6:7], v[82:83]                      // 000000009418: D3B14006 1802A506
	v_pk_mul_f32 v[4:5], v[4:5], s[60:61]                      // 000000009420: D3B14004 18007904
	v_pk_mul_f32 v[6:7], v[6:7], s[60:61]                      // 000000009428: D3B14006 18007906
	v_exp_f32_e32 v4, v4                                       // 000000009430: 7E084104
	v_exp_f32_e32 v5, v5                                       // 000000009434: 7E0A4105
	v_exp_f32_e32 v6, v6                                       // 000000009438: 7E0C4106
	v_exp_f32_e32 v7, v7                                       // 00000000943C: 7E0E4107
	v_add_f32_e64 v4, v4, 1.0                                  // 000000009440: D1010004 0001E504
	v_add_f32_e64 v5, v5, 1.0                                  // 000000009448: D1010005 0001E505
	v_add_f32_e64 v6, v6, 1.0                                  // 000000009450: D1010006 0001E506
	v_add_f32_e64 v7, v7, 1.0                                  // 000000009458: D1010007 0001E507
	v_rcp_f32_e32 v4, v4                                       // 000000009460: 7E084504
	v_rcp_f32_e32 v5, v5                                       // 000000009464: 7E0A4505
	v_rcp_f32_e32 v6, v6                                       // 000000009468: 7E0C4506
	v_rcp_f32_e32 v7, v7                                       // 00000000946C: 7E0E4507
	v_mul_f32_e32 v80, v80, v4                                 // 000000009470: 0AA00950
	v_mul_f32_e32 v81, v81, v5                                 // 000000009474: 0AA20B51
	v_mul_f32_e32 v82, v82, v6                                 // 000000009478: 0AA40D52
	v_mul_f32_e32 v83, v83, v7                                 // 00000000947C: 0AA60F53
	v_mul_f32_e32 v80, v80, v128                               // 000000009480: 0AA10150
	v_mul_f32_e32 v81, v81, v129                               // 000000009484: 0AA30351
	v_mul_f32_e32 v82, v82, v130                               // 000000009488: 0AA50552
	v_mul_f32_e32 v83, v83, v131                               // 00000000948C: 0AA70753
	v_pk_mul_f32 v[4:5], v[84:85], v[84:85]                    // 000000009490: D3B14004 1802A954
	v_pk_mul_f32 v[6:7], v[86:87], v[86:87]                    // 000000009498: D3B14006 1802AD56
	v_pk_fma_f32 v[4:5], v[4:5], s[78:79], v[8:9]              // 0000000094A0: D3B04004 1C209D04
	v_pk_fma_f32 v[6:7], v[6:7], s[78:79], v[8:9]              // 0000000094A8: D3B04006 1C209D06
	v_pk_mul_f32 v[4:5], v[4:5], v[84:85]                      // 0000000094B0: D3B14004 1802A904
	v_pk_mul_f32 v[6:7], v[6:7], v[86:87]                      // 0000000094B8: D3B14006 1802AD06
	v_pk_mul_f32 v[4:5], v[4:5], s[60:61]                      // 0000000094C0: D3B14004 18007904
	v_pk_mul_f32 v[6:7], v[6:7], s[60:61]                      // 0000000094C8: D3B14006 18007906
	v_exp_f32_e32 v4, v4                                       // 0000000094D0: 7E084104
	v_exp_f32_e32 v5, v5                                       // 0000000094D4: 7E0A4105
	v_exp_f32_e32 v6, v6                                       // 0000000094D8: 7E0C4106
	v_exp_f32_e32 v7, v7                                       // 0000000094DC: 7E0E4107
	v_add_f32_e64 v4, v4, 1.0                                  // 0000000094E0: D1010004 0001E504
	v_add_f32_e64 v5, v5, 1.0                                  // 0000000094E8: D1010005 0001E505
	v_add_f32_e64 v6, v6, 1.0                                  // 0000000094F0: D1010006 0001E506
	v_add_f32_e64 v7, v7, 1.0                                  // 0000000094F8: D1010007 0001E507
	v_rcp_f32_e32 v4, v4                                       // 000000009500: 7E084504
	v_rcp_f32_e32 v5, v5                                       // 000000009504: 7E0A4505
	v_rcp_f32_e32 v6, v6                                       // 000000009508: 7E0C4506
	v_rcp_f32_e32 v7, v7                                       // 00000000950C: 7E0E4507
	v_mul_f32_e32 v84, v84, v4                                 // 000000009510: 0AA80954
	v_mul_f32_e32 v85, v85, v5                                 // 000000009514: 0AAA0B55
	v_mul_f32_e32 v86, v86, v6                                 // 000000009518: 0AAC0D56
	v_mul_f32_e32 v87, v87, v7                                 // 00000000951C: 0AAE0F57
	v_mul_f32_e32 v84, v84, v132                               // 000000009520: 0AA90954
	v_mul_f32_e32 v85, v85, v133                               // 000000009524: 0AAB0B55
	v_mul_f32_e32 v86, v86, v134                               // 000000009528: 0AAD0D56
	v_mul_f32_e32 v87, v87, v135                               // 00000000952C: 0AAF0F57
	v_pk_mul_f32 v[4:5], v[88:89], v[88:89]                    // 000000009530: D3B14004 1802B158
	v_pk_mul_f32 v[6:7], v[90:91], v[90:91]                    // 000000009538: D3B14006 1802B55A
	v_pk_fma_f32 v[4:5], v[4:5], s[78:79], v[8:9]              // 000000009540: D3B04004 1C209D04
	v_pk_fma_f32 v[6:7], v[6:7], s[78:79], v[8:9]              // 000000009548: D3B04006 1C209D06
	v_pk_mul_f32 v[4:5], v[4:5], v[88:89]                      // 000000009550: D3B14004 1802B104
	v_pk_mul_f32 v[6:7], v[6:7], v[90:91]                      // 000000009558: D3B14006 1802B506
	v_pk_mul_f32 v[4:5], v[4:5], s[60:61]                      // 000000009560: D3B14004 18007904
	v_pk_mul_f32 v[6:7], v[6:7], s[60:61]                      // 000000009568: D3B14006 18007906
	v_exp_f32_e32 v4, v4                                       // 000000009570: 7E084104
	v_exp_f32_e32 v5, v5                                       // 000000009574: 7E0A4105
	v_exp_f32_e32 v6, v6                                       // 000000009578: 7E0C4106
	v_exp_f32_e32 v7, v7                                       // 00000000957C: 7E0E4107
	v_add_f32_e64 v4, v4, 1.0                                  // 000000009580: D1010004 0001E504
	v_add_f32_e64 v5, v5, 1.0                                  // 000000009588: D1010005 0001E505
	v_add_f32_e64 v6, v6, 1.0                                  // 000000009590: D1010006 0001E506
	v_add_f32_e64 v7, v7, 1.0                                  // 000000009598: D1010007 0001E507
	v_rcp_f32_e32 v4, v4                                       // 0000000095A0: 7E084504
	v_rcp_f32_e32 v5, v5                                       // 0000000095A4: 7E0A4505
	v_rcp_f32_e32 v6, v6                                       // 0000000095A8: 7E0C4506
	v_rcp_f32_e32 v7, v7                                       // 0000000095AC: 7E0E4507
	v_mul_f32_e32 v88, v88, v4                                 // 0000000095B0: 0AB00958
	v_mul_f32_e32 v89, v89, v5                                 // 0000000095B4: 0AB20B59
	v_mul_f32_e32 v90, v90, v6                                 // 0000000095B8: 0AB40D5A
	v_mul_f32_e32 v91, v91, v7                                 // 0000000095BC: 0AB60F5B
	v_mul_f32_e32 v88, v88, v136                               // 0000000095C0: 0AB11158
	v_mul_f32_e32 v89, v89, v137                               // 0000000095C4: 0AB31359
	v_mul_f32_e32 v90, v90, v138                               // 0000000095C8: 0AB5155A
	v_mul_f32_e32 v91, v91, v139                               // 0000000095CC: 0AB7175B
	v_pk_mul_f32 v[4:5], v[92:93], v[92:93]                    // 0000000095D0: D3B14004 1802B95C
	v_pk_mul_f32 v[6:7], v[94:95], v[94:95]                    // 0000000095D8: D3B14006 1802BD5E
	v_pk_fma_f32 v[4:5], v[4:5], s[78:79], v[8:9]              // 0000000095E0: D3B04004 1C209D04
	v_pk_fma_f32 v[6:7], v[6:7], s[78:79], v[8:9]              // 0000000095E8: D3B04006 1C209D06
	v_pk_mul_f32 v[4:5], v[4:5], v[92:93]                      // 0000000095F0: D3B14004 1802B904
	v_pk_mul_f32 v[6:7], v[6:7], v[94:95]                      // 0000000095F8: D3B14006 1802BD06
	v_pk_mul_f32 v[4:5], v[4:5], s[60:61]                      // 000000009600: D3B14004 18007904
	v_pk_mul_f32 v[6:7], v[6:7], s[60:61]                      // 000000009608: D3B14006 18007906
	v_exp_f32_e32 v4, v4                                       // 000000009610: 7E084104
	v_exp_f32_e32 v5, v5                                       // 000000009614: 7E0A4105
	v_exp_f32_e32 v6, v6                                       // 000000009618: 7E0C4106
	v_exp_f32_e32 v7, v7                                       // 00000000961C: 7E0E4107
	v_add_f32_e64 v4, v4, 1.0                                  // 000000009620: D1010004 0001E504
	v_add_f32_e64 v5, v5, 1.0                                  // 000000009628: D1010005 0001E505
	v_add_f32_e64 v6, v6, 1.0                                  // 000000009630: D1010006 0001E506
	v_add_f32_e64 v7, v7, 1.0                                  // 000000009638: D1010007 0001E507
	v_rcp_f32_e32 v4, v4                                       // 000000009640: 7E084504
	v_rcp_f32_e32 v5, v5                                       // 000000009644: 7E0A4505
	v_rcp_f32_e32 v6, v6                                       // 000000009648: 7E0C4506
	v_rcp_f32_e32 v7, v7                                       // 00000000964C: 7E0E4507
	v_mul_f32_e32 v92, v92, v4                                 // 000000009650: 0AB8095C
	v_mul_f32_e32 v93, v93, v5                                 // 000000009654: 0ABA0B5D
	v_mul_f32_e32 v94, v94, v6                                 // 000000009658: 0ABC0D5E
	v_mul_f32_e32 v95, v95, v7                                 // 00000000965C: 0ABE0F5F
	v_mul_f32_e32 v92, v92, v140                               // 000000009660: 0AB9195C
	v_mul_f32_e32 v93, v93, v141                               // 000000009664: 0ABB1B5D
	v_mul_f32_e32 v94, v94, v142                               // 000000009668: 0ABD1D5E
	v_mul_f32_e32 v95, v95, v143                               // 00000000966C: 0ABF1F5F
	v_pk_mul_f32 v[4:5], v[96:97], v[96:97]                    // 000000009670: D3B14004 1802C160
	v_pk_mul_f32 v[6:7], v[98:99], v[98:99]                    // 000000009678: D3B14006 1802C562
	v_pk_fma_f32 v[4:5], v[4:5], s[78:79], v[8:9]              // 000000009680: D3B04004 1C209D04
	v_pk_fma_f32 v[6:7], v[6:7], s[78:79], v[8:9]              // 000000009688: D3B04006 1C209D06
	v_pk_mul_f32 v[4:5], v[4:5], v[96:97]                      // 000000009690: D3B14004 1802C104
	v_pk_mul_f32 v[6:7], v[6:7], v[98:99]                      // 000000009698: D3B14006 1802C506
	v_pk_mul_f32 v[4:5], v[4:5], s[60:61]                      // 0000000096A0: D3B14004 18007904
	v_pk_mul_f32 v[6:7], v[6:7], s[60:61]                      // 0000000096A8: D3B14006 18007906
	v_exp_f32_e32 v4, v4                                       // 0000000096B0: 7E084104
	v_exp_f32_e32 v5, v5                                       // 0000000096B4: 7E0A4105
	v_exp_f32_e32 v6, v6                                       // 0000000096B8: 7E0C4106
	v_exp_f32_e32 v7, v7                                       // 0000000096BC: 7E0E4107
	v_add_f32_e64 v4, v4, 1.0                                  // 0000000096C0: D1010004 0001E504
	v_add_f32_e64 v5, v5, 1.0                                  // 0000000096C8: D1010005 0001E505
	v_add_f32_e64 v6, v6, 1.0                                  // 0000000096D0: D1010006 0001E506
	v_add_f32_e64 v7, v7, 1.0                                  // 0000000096D8: D1010007 0001E507
	v_rcp_f32_e32 v4, v4                                       // 0000000096E0: 7E084504
	v_rcp_f32_e32 v5, v5                                       // 0000000096E4: 7E0A4505
	v_rcp_f32_e32 v6, v6                                       // 0000000096E8: 7E0C4506
	v_rcp_f32_e32 v7, v7                                       // 0000000096EC: 7E0E4507
	v_mul_f32_e32 v96, v96, v4                                 // 0000000096F0: 0AC00960
	v_mul_f32_e32 v97, v97, v5                                 // 0000000096F4: 0AC20B61
	v_mul_f32_e32 v98, v98, v6                                 // 0000000096F8: 0AC40D62
	v_mul_f32_e32 v99, v99, v7                                 // 0000000096FC: 0AC60F63
	v_mul_f32_e32 v96, v96, v144                               // 000000009700: 0AC12160
	v_mul_f32_e32 v97, v97, v145                               // 000000009704: 0AC32361
	v_mul_f32_e32 v98, v98, v146                               // 000000009708: 0AC52562
	v_mul_f32_e32 v99, v99, v147                               // 00000000970C: 0AC72763
	v_pk_mul_f32 v[4:5], v[100:101], v[100:101]                // 000000009710: D3B14004 1802C964
	v_pk_mul_f32 v[6:7], v[102:103], v[102:103]                // 000000009718: D3B14006 1802CD66
	v_pk_fma_f32 v[4:5], v[4:5], s[78:79], v[8:9]              // 000000009720: D3B04004 1C209D04
	v_pk_fma_f32 v[6:7], v[6:7], s[78:79], v[8:9]              // 000000009728: D3B04006 1C209D06
	v_pk_mul_f32 v[4:5], v[4:5], v[100:101]                    // 000000009730: D3B14004 1802C904
	v_pk_mul_f32 v[6:7], v[6:7], v[102:103]                    // 000000009738: D3B14006 1802CD06
	v_pk_mul_f32 v[4:5], v[4:5], s[60:61]                      // 000000009740: D3B14004 18007904
	v_pk_mul_f32 v[6:7], v[6:7], s[60:61]                      // 000000009748: D3B14006 18007906
	v_exp_f32_e32 v4, v4                                       // 000000009750: 7E084104
	v_exp_f32_e32 v5, v5                                       // 000000009754: 7E0A4105
	v_exp_f32_e32 v6, v6                                       // 000000009758: 7E0C4106
	v_exp_f32_e32 v7, v7                                       // 00000000975C: 7E0E4107
	v_add_f32_e64 v4, v4, 1.0                                  // 000000009760: D1010004 0001E504
	v_add_f32_e64 v5, v5, 1.0                                  // 000000009768: D1010005 0001E505
	v_add_f32_e64 v6, v6, 1.0                                  // 000000009770: D1010006 0001E506
	v_add_f32_e64 v7, v7, 1.0                                  // 000000009778: D1010007 0001E507
	v_rcp_f32_e32 v4, v4                                       // 000000009780: 7E084504
	v_rcp_f32_e32 v5, v5                                       // 000000009784: 7E0A4505
	v_rcp_f32_e32 v6, v6                                       // 000000009788: 7E0C4506
	v_rcp_f32_e32 v7, v7                                       // 00000000978C: 7E0E4507
	v_mul_f32_e32 v100, v100, v4                               // 000000009790: 0AC80964
	v_mul_f32_e32 v101, v101, v5                               // 000000009794: 0ACA0B65
	v_mul_f32_e32 v102, v102, v6                               // 000000009798: 0ACC0D66
	v_mul_f32_e32 v103, v103, v7                               // 00000000979C: 0ACE0F67
	v_mul_f32_e32 v100, v100, v148                             // 0000000097A0: 0AC92964
	v_mul_f32_e32 v101, v101, v149                             // 0000000097A4: 0ACB2B65
	v_mul_f32_e32 v102, v102, v150                             // 0000000097A8: 0ACD2D66
	v_mul_f32_e32 v103, v103, v151                             // 0000000097AC: 0ACF2F67
	v_pk_mul_f32 v[4:5], v[104:105], v[104:105]                // 0000000097B0: D3B14004 1802D168
	v_pk_mul_f32 v[6:7], v[106:107], v[106:107]                // 0000000097B8: D3B14006 1802D56A
	v_pk_fma_f32 v[4:5], v[4:5], s[78:79], v[8:9]              // 0000000097C0: D3B04004 1C209D04
	v_pk_fma_f32 v[6:7], v[6:7], s[78:79], v[8:9]              // 0000000097C8: D3B04006 1C209D06
	v_pk_mul_f32 v[4:5], v[4:5], v[104:105]                    // 0000000097D0: D3B14004 1802D104
	v_pk_mul_f32 v[6:7], v[6:7], v[106:107]                    // 0000000097D8: D3B14006 1802D506
	v_pk_mul_f32 v[4:5], v[4:5], s[60:61]                      // 0000000097E0: D3B14004 18007904
	v_pk_mul_f32 v[6:7], v[6:7], s[60:61]                      // 0000000097E8: D3B14006 18007906
	v_exp_f32_e32 v4, v4                                       // 0000000097F0: 7E084104
	v_exp_f32_e32 v5, v5                                       // 0000000097F4: 7E0A4105
	v_exp_f32_e32 v6, v6                                       // 0000000097F8: 7E0C4106
	v_exp_f32_e32 v7, v7                                       // 0000000097FC: 7E0E4107
	v_add_f32_e64 v4, v4, 1.0                                  // 000000009800: D1010004 0001E504
	v_add_f32_e64 v5, v5, 1.0                                  // 000000009808: D1010005 0001E505
	v_add_f32_e64 v6, v6, 1.0                                  // 000000009810: D1010006 0001E506
	v_add_f32_e64 v7, v7, 1.0                                  // 000000009818: D1010007 0001E507
	v_rcp_f32_e32 v4, v4                                       // 000000009820: 7E084504
	v_rcp_f32_e32 v5, v5                                       // 000000009824: 7E0A4505
	v_rcp_f32_e32 v6, v6                                       // 000000009828: 7E0C4506
	v_rcp_f32_e32 v7, v7                                       // 00000000982C: 7E0E4507
	v_mul_f32_e32 v104, v104, v4                               // 000000009830: 0AD00968
	v_mul_f32_e32 v105, v105, v5                               // 000000009834: 0AD20B69
	v_mul_f32_e32 v106, v106, v6                               // 000000009838: 0AD40D6A
	v_mul_f32_e32 v107, v107, v7                               // 00000000983C: 0AD60F6B
	v_mul_f32_e32 v104, v104, v152                             // 000000009840: 0AD13168
	v_mul_f32_e32 v105, v105, v153                             // 000000009844: 0AD33369
	v_mul_f32_e32 v106, v106, v154                             // 000000009848: 0AD5356A
	v_mul_f32_e32 v107, v107, v155                             // 00000000984C: 0AD7376B
	v_pk_mul_f32 v[4:5], v[108:109], v[108:109]                // 000000009850: D3B14004 1802D96C
	v_pk_mul_f32 v[6:7], v[110:111], v[110:111]                // 000000009858: D3B14006 1802DD6E
	v_pk_fma_f32 v[4:5], v[4:5], s[78:79], v[8:9]              // 000000009860: D3B04004 1C209D04
	v_pk_fma_f32 v[6:7], v[6:7], s[78:79], v[8:9]              // 000000009868: D3B04006 1C209D06
	v_pk_mul_f32 v[4:5], v[4:5], v[108:109]                    // 000000009870: D3B14004 1802D904
	v_pk_mul_f32 v[6:7], v[6:7], v[110:111]                    // 000000009878: D3B14006 1802DD06
	v_pk_mul_f32 v[4:5], v[4:5], s[60:61]                      // 000000009880: D3B14004 18007904
	v_pk_mul_f32 v[6:7], v[6:7], s[60:61]                      // 000000009888: D3B14006 18007906
	v_exp_f32_e32 v4, v4                                       // 000000009890: 7E084104
	v_exp_f32_e32 v5, v5                                       // 000000009894: 7E0A4105
	v_exp_f32_e32 v6, v6                                       // 000000009898: 7E0C4106
	v_exp_f32_e32 v7, v7                                       // 00000000989C: 7E0E4107
	v_add_f32_e64 v4, v4, 1.0                                  // 0000000098A0: D1010004 0001E504
	v_add_f32_e64 v5, v5, 1.0                                  // 0000000098A8: D1010005 0001E505
	v_add_f32_e64 v6, v6, 1.0                                  // 0000000098B0: D1010006 0001E506
	v_add_f32_e64 v7, v7, 1.0                                  // 0000000098B8: D1010007 0001E507
	v_rcp_f32_e32 v4, v4                                       // 0000000098C0: 7E084504
	v_rcp_f32_e32 v5, v5                                       // 0000000098C4: 7E0A4505
	v_rcp_f32_e32 v6, v6                                       // 0000000098C8: 7E0C4506
	v_rcp_f32_e32 v7, v7                                       // 0000000098CC: 7E0E4507
	v_mul_f32_e32 v108, v108, v4                               // 0000000098D0: 0AD8096C
	v_mul_f32_e32 v109, v109, v5                               // 0000000098D4: 0ADA0B6D
	v_mul_f32_e32 v110, v110, v6                               // 0000000098D8: 0ADC0D6E
	v_mul_f32_e32 v111, v111, v7                               // 0000000098DC: 0ADE0F6F
	v_mul_f32_e32 v108, v108, v156                             // 0000000098E0: 0AD9396C
	v_mul_f32_e32 v109, v109, v157                             // 0000000098E4: 0ADB3B6D
	v_mul_f32_e32 v110, v110, v158                             // 0000000098E8: 0ADD3D6E
	v_mul_f32_e32 v111, v111, v159                             // 0000000098EC: 0ADF3F6F
	v_pk_mul_f32 v[4:5], v[112:113], v[112:113]                // 0000000098F0: D3B14004 1802E170
	v_pk_mul_f32 v[6:7], v[114:115], v[114:115]                // 0000000098F8: D3B14006 1802E572
	v_pk_fma_f32 v[4:5], v[4:5], s[78:79], v[8:9]              // 000000009900: D3B04004 1C209D04
	v_pk_fma_f32 v[6:7], v[6:7], s[78:79], v[8:9]              // 000000009908: D3B04006 1C209D06
	v_pk_mul_f32 v[4:5], v[4:5], v[112:113]                    // 000000009910: D3B14004 1802E104
	v_pk_mul_f32 v[6:7], v[6:7], v[114:115]                    // 000000009918: D3B14006 1802E506
	v_pk_mul_f32 v[4:5], v[4:5], s[60:61]                      // 000000009920: D3B14004 18007904
	v_pk_mul_f32 v[6:7], v[6:7], s[60:61]                      // 000000009928: D3B14006 18007906
	v_exp_f32_e32 v4, v4                                       // 000000009930: 7E084104
	v_exp_f32_e32 v5, v5                                       // 000000009934: 7E0A4105
	v_exp_f32_e32 v6, v6                                       // 000000009938: 7E0C4106
	v_exp_f32_e32 v7, v7                                       // 00000000993C: 7E0E4107
	v_add_f32_e64 v4, v4, 1.0                                  // 000000009940: D1010004 0001E504
	v_add_f32_e64 v5, v5, 1.0                                  // 000000009948: D1010005 0001E505
	v_add_f32_e64 v6, v6, 1.0                                  // 000000009950: D1010006 0001E506
	v_add_f32_e64 v7, v7, 1.0                                  // 000000009958: D1010007 0001E507
	v_rcp_f32_e32 v4, v4                                       // 000000009960: 7E084504
	v_rcp_f32_e32 v5, v5                                       // 000000009964: 7E0A4505
	v_rcp_f32_e32 v6, v6                                       // 000000009968: 7E0C4506
	v_rcp_f32_e32 v7, v7                                       // 00000000996C: 7E0E4507
	v_mul_f32_e32 v112, v112, v4                               // 000000009970: 0AE00970
	v_mul_f32_e32 v113, v113, v5                               // 000000009974: 0AE20B71
	v_mul_f32_e32 v114, v114, v6                               // 000000009978: 0AE40D72
	v_mul_f32_e32 v115, v115, v7                               // 00000000997C: 0AE60F73
	v_mul_f32_e32 v112, v112, v160                             // 000000009980: 0AE14170
	v_mul_f32_e32 v113, v113, v161                             // 000000009984: 0AE34371
	v_mul_f32_e32 v114, v114, v162                             // 000000009988: 0AE54572
	v_mul_f32_e32 v115, v115, v163                             // 00000000998C: 0AE74773
	s_branch label_1D68                                        // 000000009990: BF820180

0000000000009994 <label_1BE8>:
	v_mul_f32_e64 v4, -v68, s6                                 // 000000009994: D1050004 20000D44
	v_mul_f32_e64 v5, -v69, s6                                 // 00000000999C: D1050005 20000D45
	v_mul_f32_e64 v6, -v70, s6                                 // 0000000099A4: D1050006 20000D46
	v_mul_f32_e64 v7, -v71, s6                                 // 0000000099AC: D1050007 20000D47
	v_exp_f32_e32 v4, v4                                       // 0000000099B4: 7E084104
	v_exp_f32_e32 v5, v5                                       // 0000000099B8: 7E0A4105
	v_exp_f32_e32 v6, v6                                       // 0000000099BC: 7E0C4106
	v_exp_f32_e32 v7, v7                                       // 0000000099C0: 7E0E4107
	v_add_f32_e64 v4, v4, 1.0                                  // 0000000099C4: D1010004 0001E504
	v_add_f32_e64 v5, v5, 1.0                                  // 0000000099CC: D1010005 0001E505
	v_add_f32_e64 v6, v6, 1.0                                  // 0000000099D4: D1010006 0001E506
	v_add_f32_e64 v7, v7, 1.0                                  // 0000000099DC: D1010007 0001E507
	v_rcp_f32_e32 v4, v4                                       // 0000000099E4: 7E084504
	v_rcp_f32_e32 v5, v5                                       // 0000000099E8: 7E0A4505
	v_rcp_f32_e32 v6, v6                                       // 0000000099EC: 7E0C4506
	v_rcp_f32_e32 v7, v7                                       // 0000000099F0: 7E0E4507
	v_mul_f32_e32 v68, v68, v4                                 // 0000000099F4: 0A880944
	v_mul_f32_e32 v69, v69, v5                                 // 0000000099F8: 0A8A0B45
	v_mul_f32_e32 v70, v70, v6                                 // 0000000099FC: 0A8C0D46
	v_mul_f32_e32 v71, v71, v7                                 // 000000009A00: 0A8E0F47
	v_mul_f32_e32 v68, v68, v116                               // 000000009A04: 0A88E944
	v_mul_f32_e32 v69, v69, v117                               // 000000009A08: 0A8AEB45
	v_mul_f32_e32 v70, v70, v118                               // 000000009A0C: 0A8CED46
	v_mul_f32_e32 v71, v71, v119                               // 000000009A10: 0A8EEF47
	v_mul_f32_e64 v4, -v72, s6                                 // 000000009A14: D1050004 20000D48
	v_mul_f32_e64 v5, -v73, s6                                 // 000000009A1C: D1050005 20000D49
	v_mul_f32_e64 v6, -v74, s6                                 // 000000009A24: D1050006 20000D4A
	v_mul_f32_e64 v7, -v75, s6                                 // 000000009A2C: D1050007 20000D4B
	v_exp_f32_e32 v4, v4                                       // 000000009A34: 7E084104
	v_exp_f32_e32 v5, v5                                       // 000000009A38: 7E0A4105
	v_exp_f32_e32 v6, v6                                       // 000000009A3C: 7E0C4106
	v_exp_f32_e32 v7, v7                                       // 000000009A40: 7E0E4107
	v_add_f32_e64 v4, v4, 1.0                                  // 000000009A44: D1010004 0001E504
	v_add_f32_e64 v5, v5, 1.0                                  // 000000009A4C: D1010005 0001E505
	v_add_f32_e64 v6, v6, 1.0                                  // 000000009A54: D1010006 0001E506
	v_add_f32_e64 v7, v7, 1.0                                  // 000000009A5C: D1010007 0001E507
	v_rcp_f32_e32 v4, v4                                       // 000000009A64: 7E084504
	v_rcp_f32_e32 v5, v5                                       // 000000009A68: 7E0A4505
	v_rcp_f32_e32 v6, v6                                       // 000000009A6C: 7E0C4506
	v_rcp_f32_e32 v7, v7                                       // 000000009A70: 7E0E4507
	v_mul_f32_e32 v72, v72, v4                                 // 000000009A74: 0A900948
	v_mul_f32_e32 v73, v73, v5                                 // 000000009A78: 0A920B49
	v_mul_f32_e32 v74, v74, v6                                 // 000000009A7C: 0A940D4A
	v_mul_f32_e32 v75, v75, v7                                 // 000000009A80: 0A960F4B
	v_mul_f32_e32 v72, v72, v120                               // 000000009A84: 0A90F148
	v_mul_f32_e32 v73, v73, v121                               // 000000009A88: 0A92F349
	v_mul_f32_e32 v74, v74, v122                               // 000000009A8C: 0A94F54A
	v_mul_f32_e32 v75, v75, v123                               // 000000009A90: 0A96F74B
	v_mul_f32_e64 v4, -v76, s6                                 // 000000009A94: D1050004 20000D4C
	v_mul_f32_e64 v5, -v77, s6                                 // 000000009A9C: D1050005 20000D4D
	v_mul_f32_e64 v6, -v78, s6                                 // 000000009AA4: D1050006 20000D4E
	v_mul_f32_e64 v7, -v79, s6                                 // 000000009AAC: D1050007 20000D4F
	v_exp_f32_e32 v4, v4                                       // 000000009AB4: 7E084104
	v_exp_f32_e32 v5, v5                                       // 000000009AB8: 7E0A4105
	v_exp_f32_e32 v6, v6                                       // 000000009ABC: 7E0C4106
	v_exp_f32_e32 v7, v7                                       // 000000009AC0: 7E0E4107
	v_add_f32_e64 v4, v4, 1.0                                  // 000000009AC4: D1010004 0001E504
	v_add_f32_e64 v5, v5, 1.0                                  // 000000009ACC: D1010005 0001E505
	v_add_f32_e64 v6, v6, 1.0                                  // 000000009AD4: D1010006 0001E506
	v_add_f32_e64 v7, v7, 1.0                                  // 000000009ADC: D1010007 0001E507
	v_rcp_f32_e32 v4, v4                                       // 000000009AE4: 7E084504
	v_rcp_f32_e32 v5, v5                                       // 000000009AE8: 7E0A4505
	v_rcp_f32_e32 v6, v6                                       // 000000009AEC: 7E0C4506
	v_rcp_f32_e32 v7, v7                                       // 000000009AF0: 7E0E4507
	v_mul_f32_e32 v76, v76, v4                                 // 000000009AF4: 0A98094C
	v_mul_f32_e32 v77, v77, v5                                 // 000000009AF8: 0A9A0B4D
	v_mul_f32_e32 v78, v78, v6                                 // 000000009AFC: 0A9C0D4E
	v_mul_f32_e32 v79, v79, v7                                 // 000000009B00: 0A9E0F4F
	v_mul_f32_e32 v76, v76, v124                               // 000000009B04: 0A98F94C
	v_mul_f32_e32 v77, v77, v125                               // 000000009B08: 0A9AFB4D
	v_mul_f32_e32 v78, v78, v126                               // 000000009B0C: 0A9CFD4E
	v_mul_f32_e32 v79, v79, v127                               // 000000009B10: 0A9EFF4F
	v_mul_f32_e64 v4, -v80, s6                                 // 000000009B14: D1050004 20000D50
	v_mul_f32_e64 v5, -v81, s6                                 // 000000009B1C: D1050005 20000D51
	v_mul_f32_e64 v6, -v82, s6                                 // 000000009B24: D1050006 20000D52
	v_mul_f32_e64 v7, -v83, s6                                 // 000000009B2C: D1050007 20000D53
	v_exp_f32_e32 v4, v4                                       // 000000009B34: 7E084104
	v_exp_f32_e32 v5, v5                                       // 000000009B38: 7E0A4105
	v_exp_f32_e32 v6, v6                                       // 000000009B3C: 7E0C4106
	v_exp_f32_e32 v7, v7                                       // 000000009B40: 7E0E4107
	v_add_f32_e64 v4, v4, 1.0                                  // 000000009B44: D1010004 0001E504
	v_add_f32_e64 v5, v5, 1.0                                  // 000000009B4C: D1010005 0001E505
	v_add_f32_e64 v6, v6, 1.0                                  // 000000009B54: D1010006 0001E506
	v_add_f32_e64 v7, v7, 1.0                                  // 000000009B5C: D1010007 0001E507
	v_rcp_f32_e32 v4, v4                                       // 000000009B64: 7E084504
	v_rcp_f32_e32 v5, v5                                       // 000000009B68: 7E0A4505
	v_rcp_f32_e32 v6, v6                                       // 000000009B6C: 7E0C4506
	v_rcp_f32_e32 v7, v7                                       // 000000009B70: 7E0E4507
	v_mul_f32_e32 v80, v80, v4                                 // 000000009B74: 0AA00950
	v_mul_f32_e32 v81, v81, v5                                 // 000000009B78: 0AA20B51
	v_mul_f32_e32 v82, v82, v6                                 // 000000009B7C: 0AA40D52
	v_mul_f32_e32 v83, v83, v7                                 // 000000009B80: 0AA60F53
	v_mul_f32_e32 v80, v80, v128                               // 000000009B84: 0AA10150
	v_mul_f32_e32 v81, v81, v129                               // 000000009B88: 0AA30351
	v_mul_f32_e32 v82, v82, v130                               // 000000009B8C: 0AA50552
	v_mul_f32_e32 v83, v83, v131                               // 000000009B90: 0AA70753
	v_mul_f32_e64 v4, -v84, s6                                 // 000000009B94: D1050004 20000D54
	v_mul_f32_e64 v5, -v85, s6                                 // 000000009B9C: D1050005 20000D55
	v_mul_f32_e64 v6, -v86, s6                                 // 000000009BA4: D1050006 20000D56
	v_mul_f32_e64 v7, -v87, s6                                 // 000000009BAC: D1050007 20000D57
	v_exp_f32_e32 v4, v4                                       // 000000009BB4: 7E084104
	v_exp_f32_e32 v5, v5                                       // 000000009BB8: 7E0A4105
	v_exp_f32_e32 v6, v6                                       // 000000009BBC: 7E0C4106
	v_exp_f32_e32 v7, v7                                       // 000000009BC0: 7E0E4107
	v_add_f32_e64 v4, v4, 1.0                                  // 000000009BC4: D1010004 0001E504
	v_add_f32_e64 v5, v5, 1.0                                  // 000000009BCC: D1010005 0001E505
	v_add_f32_e64 v6, v6, 1.0                                  // 000000009BD4: D1010006 0001E506
	v_add_f32_e64 v7, v7, 1.0                                  // 000000009BDC: D1010007 0001E507
	v_rcp_f32_e32 v4, v4                                       // 000000009BE4: 7E084504
	v_rcp_f32_e32 v5, v5                                       // 000000009BE8: 7E0A4505
	v_rcp_f32_e32 v6, v6                                       // 000000009BEC: 7E0C4506
	v_rcp_f32_e32 v7, v7                                       // 000000009BF0: 7E0E4507
	v_mul_f32_e32 v84, v84, v4                                 // 000000009BF4: 0AA80954
	v_mul_f32_e32 v85, v85, v5                                 // 000000009BF8: 0AAA0B55
	v_mul_f32_e32 v86, v86, v6                                 // 000000009BFC: 0AAC0D56
	v_mul_f32_e32 v87, v87, v7                                 // 000000009C00: 0AAE0F57
	v_mul_f32_e32 v84, v84, v132                               // 000000009C04: 0AA90954
	v_mul_f32_e32 v85, v85, v133                               // 000000009C08: 0AAB0B55
	v_mul_f32_e32 v86, v86, v134                               // 000000009C0C: 0AAD0D56
	v_mul_f32_e32 v87, v87, v135                               // 000000009C10: 0AAF0F57
	v_mul_f32_e64 v4, -v88, s6                                 // 000000009C14: D1050004 20000D58
	v_mul_f32_e64 v5, -v89, s6                                 // 000000009C1C: D1050005 20000D59
	v_mul_f32_e64 v6, -v90, s6                                 // 000000009C24: D1050006 20000D5A
	v_mul_f32_e64 v7, -v91, s6                                 // 000000009C2C: D1050007 20000D5B
	v_exp_f32_e32 v4, v4                                       // 000000009C34: 7E084104
	v_exp_f32_e32 v5, v5                                       // 000000009C38: 7E0A4105
	v_exp_f32_e32 v6, v6                                       // 000000009C3C: 7E0C4106
	v_exp_f32_e32 v7, v7                                       // 000000009C40: 7E0E4107
	v_add_f32_e64 v4, v4, 1.0                                  // 000000009C44: D1010004 0001E504
	v_add_f32_e64 v5, v5, 1.0                                  // 000000009C4C: D1010005 0001E505
	v_add_f32_e64 v6, v6, 1.0                                  // 000000009C54: D1010006 0001E506
	v_add_f32_e64 v7, v7, 1.0                                  // 000000009C5C: D1010007 0001E507
	v_rcp_f32_e32 v4, v4                                       // 000000009C64: 7E084504
	v_rcp_f32_e32 v5, v5                                       // 000000009C68: 7E0A4505
	v_rcp_f32_e32 v6, v6                                       // 000000009C6C: 7E0C4506
	v_rcp_f32_e32 v7, v7                                       // 000000009C70: 7E0E4507
	v_mul_f32_e32 v88, v88, v4                                 // 000000009C74: 0AB00958
	v_mul_f32_e32 v89, v89, v5                                 // 000000009C78: 0AB20B59
	v_mul_f32_e32 v90, v90, v6                                 // 000000009C7C: 0AB40D5A
	v_mul_f32_e32 v91, v91, v7                                 // 000000009C80: 0AB60F5B
	v_mul_f32_e32 v88, v88, v136                               // 000000009C84: 0AB11158
	v_mul_f32_e32 v89, v89, v137                               // 000000009C88: 0AB31359
	v_mul_f32_e32 v90, v90, v138                               // 000000009C8C: 0AB5155A
	v_mul_f32_e32 v91, v91, v139                               // 000000009C90: 0AB7175B
	v_mul_f32_e64 v4, -v92, s6                                 // 000000009C94: D1050004 20000D5C
	v_mul_f32_e64 v5, -v93, s6                                 // 000000009C9C: D1050005 20000D5D
	v_mul_f32_e64 v6, -v94, s6                                 // 000000009CA4: D1050006 20000D5E
	v_mul_f32_e64 v7, -v95, s6                                 // 000000009CAC: D1050007 20000D5F
	v_exp_f32_e32 v4, v4                                       // 000000009CB4: 7E084104
	v_exp_f32_e32 v5, v5                                       // 000000009CB8: 7E0A4105
	v_exp_f32_e32 v6, v6                                       // 000000009CBC: 7E0C4106
	v_exp_f32_e32 v7, v7                                       // 000000009CC0: 7E0E4107
	v_add_f32_e64 v4, v4, 1.0                                  // 000000009CC4: D1010004 0001E504
	v_add_f32_e64 v5, v5, 1.0                                  // 000000009CCC: D1010005 0001E505
	v_add_f32_e64 v6, v6, 1.0                                  // 000000009CD4: D1010006 0001E506
	v_add_f32_e64 v7, v7, 1.0                                  // 000000009CDC: D1010007 0001E507
	v_rcp_f32_e32 v4, v4                                       // 000000009CE4: 7E084504
	v_rcp_f32_e32 v5, v5                                       // 000000009CE8: 7E0A4505
	v_rcp_f32_e32 v6, v6                                       // 000000009CEC: 7E0C4506
	v_rcp_f32_e32 v7, v7                                       // 000000009CF0: 7E0E4507
	v_mul_f32_e32 v92, v92, v4                                 // 000000009CF4: 0AB8095C
	v_mul_f32_e32 v93, v93, v5                                 // 000000009CF8: 0ABA0B5D
	v_mul_f32_e32 v94, v94, v6                                 // 000000009CFC: 0ABC0D5E
	v_mul_f32_e32 v95, v95, v7                                 // 000000009D00: 0ABE0F5F
	v_mul_f32_e32 v92, v92, v140                               // 000000009D04: 0AB9195C
	v_mul_f32_e32 v93, v93, v141                               // 000000009D08: 0ABB1B5D
	v_mul_f32_e32 v94, v94, v142                               // 000000009D0C: 0ABD1D5E
	v_mul_f32_e32 v95, v95, v143                               // 000000009D10: 0ABF1F5F
	v_mul_f32_e64 v4, -v96, s6                                 // 000000009D14: D1050004 20000D60
	v_mul_f32_e64 v5, -v97, s6                                 // 000000009D1C: D1050005 20000D61
	v_mul_f32_e64 v6, -v98, s6                                 // 000000009D24: D1050006 20000D62
	v_mul_f32_e64 v7, -v99, s6                                 // 000000009D2C: D1050007 20000D63
	v_exp_f32_e32 v4, v4                                       // 000000009D34: 7E084104
	v_exp_f32_e32 v5, v5                                       // 000000009D38: 7E0A4105
	v_exp_f32_e32 v6, v6                                       // 000000009D3C: 7E0C4106
	v_exp_f32_e32 v7, v7                                       // 000000009D40: 7E0E4107
	v_add_f32_e64 v4, v4, 1.0                                  // 000000009D44: D1010004 0001E504
	v_add_f32_e64 v5, v5, 1.0                                  // 000000009D4C: D1010005 0001E505
	v_add_f32_e64 v6, v6, 1.0                                  // 000000009D54: D1010006 0001E506
	v_add_f32_e64 v7, v7, 1.0                                  // 000000009D5C: D1010007 0001E507
	v_rcp_f32_e32 v4, v4                                       // 000000009D64: 7E084504
	v_rcp_f32_e32 v5, v5                                       // 000000009D68: 7E0A4505
	v_rcp_f32_e32 v6, v6                                       // 000000009D6C: 7E0C4506
	v_rcp_f32_e32 v7, v7                                       // 000000009D70: 7E0E4507
	v_mul_f32_e32 v96, v96, v4                                 // 000000009D74: 0AC00960
	v_mul_f32_e32 v97, v97, v5                                 // 000000009D78: 0AC20B61
	v_mul_f32_e32 v98, v98, v6                                 // 000000009D7C: 0AC40D62
	v_mul_f32_e32 v99, v99, v7                                 // 000000009D80: 0AC60F63
	v_mul_f32_e32 v96, v96, v144                               // 000000009D84: 0AC12160
	v_mul_f32_e32 v97, v97, v145                               // 000000009D88: 0AC32361
	v_mul_f32_e32 v98, v98, v146                               // 000000009D8C: 0AC52562
	v_mul_f32_e32 v99, v99, v147                               // 000000009D90: 0AC72763
	v_mul_f32_e64 v4, -v100, s6                                // 000000009D94: D1050004 20000D64
	v_mul_f32_e64 v5, -v101, s6                                // 000000009D9C: D1050005 20000D65
	v_mul_f32_e64 v6, -v102, s6                                // 000000009DA4: D1050006 20000D66
	v_mul_f32_e64 v7, -v103, s6                                // 000000009DAC: D1050007 20000D67
	v_exp_f32_e32 v4, v4                                       // 000000009DB4: 7E084104
	v_exp_f32_e32 v5, v5                                       // 000000009DB8: 7E0A4105
	v_exp_f32_e32 v6, v6                                       // 000000009DBC: 7E0C4106
	v_exp_f32_e32 v7, v7                                       // 000000009DC0: 7E0E4107
	v_add_f32_e64 v4, v4, 1.0                                  // 000000009DC4: D1010004 0001E504
	v_add_f32_e64 v5, v5, 1.0                                  // 000000009DCC: D1010005 0001E505
	v_add_f32_e64 v6, v6, 1.0                                  // 000000009DD4: D1010006 0001E506
	v_add_f32_e64 v7, v7, 1.0                                  // 000000009DDC: D1010007 0001E507
	v_rcp_f32_e32 v4, v4                                       // 000000009DE4: 7E084504
	v_rcp_f32_e32 v5, v5                                       // 000000009DE8: 7E0A4505
	v_rcp_f32_e32 v6, v6                                       // 000000009DEC: 7E0C4506
	v_rcp_f32_e32 v7, v7                                       // 000000009DF0: 7E0E4507
	v_mul_f32_e32 v100, v100, v4                               // 000000009DF4: 0AC80964
	v_mul_f32_e32 v101, v101, v5                               // 000000009DF8: 0ACA0B65
	v_mul_f32_e32 v102, v102, v6                               // 000000009DFC: 0ACC0D66
	v_mul_f32_e32 v103, v103, v7                               // 000000009E00: 0ACE0F67
	v_mul_f32_e32 v100, v100, v148                             // 000000009E04: 0AC92964
	v_mul_f32_e32 v101, v101, v149                             // 000000009E08: 0ACB2B65
	v_mul_f32_e32 v102, v102, v150                             // 000000009E0C: 0ACD2D66
	v_mul_f32_e32 v103, v103, v151                             // 000000009E10: 0ACF2F67
	v_mul_f32_e64 v4, -v104, s6                                // 000000009E14: D1050004 20000D68
	v_mul_f32_e64 v5, -v105, s6                                // 000000009E1C: D1050005 20000D69
	v_mul_f32_e64 v6, -v106, s6                                // 000000009E24: D1050006 20000D6A
	v_mul_f32_e64 v7, -v107, s6                                // 000000009E2C: D1050007 20000D6B
	v_exp_f32_e32 v4, v4                                       // 000000009E34: 7E084104
	v_exp_f32_e32 v5, v5                                       // 000000009E38: 7E0A4105
	v_exp_f32_e32 v6, v6                                       // 000000009E3C: 7E0C4106
	v_exp_f32_e32 v7, v7                                       // 000000009E40: 7E0E4107
	v_add_f32_e64 v4, v4, 1.0                                  // 000000009E44: D1010004 0001E504
	v_add_f32_e64 v5, v5, 1.0                                  // 000000009E4C: D1010005 0001E505
	v_add_f32_e64 v6, v6, 1.0                                  // 000000009E54: D1010006 0001E506
	v_add_f32_e64 v7, v7, 1.0                                  // 000000009E5C: D1010007 0001E507
	v_rcp_f32_e32 v4, v4                                       // 000000009E64: 7E084504
	v_rcp_f32_e32 v5, v5                                       // 000000009E68: 7E0A4505
	v_rcp_f32_e32 v6, v6                                       // 000000009E6C: 7E0C4506
	v_rcp_f32_e32 v7, v7                                       // 000000009E70: 7E0E4507
	v_mul_f32_e32 v104, v104, v4                               // 000000009E74: 0AD00968
	v_mul_f32_e32 v105, v105, v5                               // 000000009E78: 0AD20B69
	v_mul_f32_e32 v106, v106, v6                               // 000000009E7C: 0AD40D6A
	v_mul_f32_e32 v107, v107, v7                               // 000000009E80: 0AD60F6B
	v_mul_f32_e32 v104, v104, v152                             // 000000009E84: 0AD13168
	v_mul_f32_e32 v105, v105, v153                             // 000000009E88: 0AD33369
	v_mul_f32_e32 v106, v106, v154                             // 000000009E8C: 0AD5356A
	v_mul_f32_e32 v107, v107, v155                             // 000000009E90: 0AD7376B
	v_mul_f32_e64 v4, -v108, s6                                // 000000009E94: D1050004 20000D6C
	v_mul_f32_e64 v5, -v109, s6                                // 000000009E9C: D1050005 20000D6D
	v_mul_f32_e64 v6, -v110, s6                                // 000000009EA4: D1050006 20000D6E
	v_mul_f32_e64 v7, -v111, s6                                // 000000009EAC: D1050007 20000D6F
	v_exp_f32_e32 v4, v4                                       // 000000009EB4: 7E084104
	v_exp_f32_e32 v5, v5                                       // 000000009EB8: 7E0A4105
	v_exp_f32_e32 v6, v6                                       // 000000009EBC: 7E0C4106
	v_exp_f32_e32 v7, v7                                       // 000000009EC0: 7E0E4107
	v_add_f32_e64 v4, v4, 1.0                                  // 000000009EC4: D1010004 0001E504
	v_add_f32_e64 v5, v5, 1.0                                  // 000000009ECC: D1010005 0001E505
	v_add_f32_e64 v6, v6, 1.0                                  // 000000009ED4: D1010006 0001E506
	v_add_f32_e64 v7, v7, 1.0                                  // 000000009EDC: D1010007 0001E507
	v_rcp_f32_e32 v4, v4                                       // 000000009EE4: 7E084504
	v_rcp_f32_e32 v5, v5                                       // 000000009EE8: 7E0A4505
	v_rcp_f32_e32 v6, v6                                       // 000000009EEC: 7E0C4506
	v_rcp_f32_e32 v7, v7                                       // 000000009EF0: 7E0E4507
	v_mul_f32_e32 v108, v108, v4                               // 000000009EF4: 0AD8096C
	v_mul_f32_e32 v109, v109, v5                               // 000000009EF8: 0ADA0B6D
	v_mul_f32_e32 v110, v110, v6                               // 000000009EFC: 0ADC0D6E
	v_mul_f32_e32 v111, v111, v7                               // 000000009F00: 0ADE0F6F
	v_mul_f32_e32 v108, v108, v156                             // 000000009F04: 0AD9396C
	v_mul_f32_e32 v109, v109, v157                             // 000000009F08: 0ADB3B6D
	v_mul_f32_e32 v110, v110, v158                             // 000000009F0C: 0ADD3D6E
	v_mul_f32_e32 v111, v111, v159                             // 000000009F10: 0ADF3F6F
	v_mul_f32_e64 v4, -v112, s6                                // 000000009F14: D1050004 20000D70
	v_mul_f32_e64 v5, -v113, s6                                // 000000009F1C: D1050005 20000D71
	v_mul_f32_e64 v6, -v114, s6                                // 000000009F24: D1050006 20000D72
	v_mul_f32_e64 v7, -v115, s6                                // 000000009F2C: D1050007 20000D73
	v_exp_f32_e32 v4, v4                                       // 000000009F34: 7E084104
	v_exp_f32_e32 v5, v5                                       // 000000009F38: 7E0A4105
	v_exp_f32_e32 v6, v6                                       // 000000009F3C: 7E0C4106
	v_exp_f32_e32 v7, v7                                       // 000000009F40: 7E0E4107
	v_add_f32_e64 v4, v4, 1.0                                  // 000000009F44: D1010004 0001E504
	v_add_f32_e64 v5, v5, 1.0                                  // 000000009F4C: D1010005 0001E505
	v_add_f32_e64 v6, v6, 1.0                                  // 000000009F54: D1010006 0001E506
	v_add_f32_e64 v7, v7, 1.0                                  // 000000009F5C: D1010007 0001E507
	v_rcp_f32_e32 v4, v4                                       // 000000009F64: 7E084504
	v_rcp_f32_e32 v5, v5                                       // 000000009F68: 7E0A4505
	v_rcp_f32_e32 v6, v6                                       // 000000009F6C: 7E0C4506
	v_rcp_f32_e32 v7, v7                                       // 000000009F70: 7E0E4507
	v_mul_f32_e32 v112, v112, v4                               // 000000009F74: 0AE00970
	v_mul_f32_e32 v113, v113, v5                               // 000000009F78: 0AE20B71
	v_mul_f32_e32 v114, v114, v6                               // 000000009F7C: 0AE40D72
	v_mul_f32_e32 v115, v115, v7                               // 000000009F80: 0AE60F73
	v_mul_f32_e32 v112, v112, v160                             // 000000009F84: 0AE14170
	v_mul_f32_e32 v113, v113, v161                             // 000000009F88: 0AE34371
	v_mul_f32_e32 v114, v114, v162                             // 000000009F8C: 0AE54572
	v_mul_f32_e32 v115, v115, v163                             // 000000009F90: 0AE74773

0000000000009f94 <label_1D68>:
	s_cmp_eq_u32 s7, 0                                         // 000000009F94: BF068007
	s_cbranch_scc0 label_1D7E                                  // 000000009F98: BF840014
	v_and_b32_e32 v4, 15, v0                                   // 000000009F9C: 2608008F
	v_lshlrev_b32_e32 v4, 2, v4                                // 000000009FA0: 24080882
	buffer_load_dword v28, v4, s[12:15], 0 offen               // 000000009FA4: E0501000 80031C04
	v_add_u32_e32 v4, 64, v4                                   // 000000009FAC: 680808C0
	buffer_load_dword v29, v4, s[12:15], 0 offen               // 000000009FB0: E0501000 80031D04
	v_add_u32_e32 v4, 64, v4                                   // 000000009FB8: 680808C0
	buffer_load_dword v30, v4, s[12:15], 0 offen               // 000000009FBC: E0501000 80031E04
	v_add_u32_e32 v4, 64, v4                                   // 000000009FC4: 680808C0
	buffer_load_dword v31, v4, s[12:15], 0 offen               // 000000009FC8: E0501000 80031F04
	v_add_u32_e32 v4, 64, v4                                   // 000000009FD0: 680808C0
	buffer_load_dword v32, v4, s[12:15], 0 offen               // 000000009FD4: E0501000 80032004
	v_add_u32_e32 v4, 64, v4                                   // 000000009FDC: 680808C0
	buffer_load_dword v33, v4, s[12:15], 0 offen               // 000000009FE0: E0501000 80032104
	v_add_u32_e32 v4, 64, v4                                   // 000000009FE8: 680808C0

0000000000009fec <label_1D7E>:
	v_lshlrev_b32_e32 v4, 2, v0                                // 000000009FEC: 24080082
	s_mul_i32 s60, 0x100, s7                                   // 000000009FF0: 923C07FF 00000100
	v_add_u32_e32 v122, s60, v4                                // 000000009FF8: 68F4083C
	v_and_b32_e32 v4, 15, v0                                   // 000000009FFC: 2608008F
	v_lshlrev_b32_e32 v123, 2, v4                              // 00000000A000: 24F60882
	s_waitcnt lgkmcnt(0)                                       // 00000000A004: BF8CC07F
	s_barrier                                                  // 00000000A008: BF8A0000
	v_mov_b32_e32 v116, 0x358637bd                             // 00000000A00C: 7EE802FF 358637BD
	v_max3_f32 v116, |v68|, |v69|, v116                        // 00000000A014: D1D30374 05D28B44
	v_max3_f32 v116, |v70|, |v71|, v116                        // 00000000A01C: D1D30374 05D28F46
	v_max3_f32 v116, |v92|, |v93|, v116                        // 00000000A024: D1D30374 05D2BB5C
	v_max3_f32 v116, |v94|, |v95|, v116                        // 00000000A02C: D1D30374 05D2BF5E
	ds_write_b32 v122, v116                                    // 00000000A034: D81A0000 0000747A
	s_waitcnt lgkmcnt(0)                                       // 00000000A03C: BF8CC07F
	s_barrier                                                  // 00000000A040: BF8A0000
	ds_read_b32 v4, v123                                       // 00000000A044: D86C0000 0400007B
	ds_read_b32 v5, v123 offset:64                             // 00000000A04C: D86C0040 0500007B
	ds_read_b32 v6, v123 offset:128                            // 00000000A054: D86C0080 0600007B
	ds_read_b32 v7, v123 offset:192                            // 00000000A05C: D86C00C0 0700007B
	ds_read_b32 v8, v123 offset:256                            // 00000000A064: D86C0100 0800007B
	ds_read_b32 v9, v123 offset:320                            // 00000000A06C: D86C0140 0900007B
	ds_read_b32 v10, v123 offset:384                           // 00000000A074: D86C0180 0A00007B
	ds_read_b32 v11, v123 offset:448                           // 00000000A07C: D86C01C0 0B00007B
	ds_read_b32 v12, v123 offset:512                           // 00000000A084: D86C0200 0C00007B
	ds_read_b32 v13, v123 offset:576                           // 00000000A08C: D86C0240 0D00007B
	ds_read_b32 v14, v123 offset:640                           // 00000000A094: D86C0280 0E00007B
	ds_read_b32 v15, v123 offset:704                           // 00000000A09C: D86C02C0 0F00007B
	ds_read_b32 v16, v123 offset:768                           // 00000000A0A4: D86C0300 1000007B
	ds_read_b32 v17, v123 offset:832                           // 00000000A0AC: D86C0340 1100007B
	ds_read_b32 v18, v123 offset:896                           // 00000000A0B4: D86C0380 1200007B
	ds_read_b32 v19, v123 offset:960                           // 00000000A0BC: D86C03C0 1300007B
	s_waitcnt lgkmcnt(0)                                       // 00000000A0C4: BF8CC07F
	s_barrier                                                  // 00000000A0C8: BF8A0000
	v_max3_f32 v116, |v4|, |v5|, v116                          // 00000000A0CC: D1D30374 05D20B04
	v_max3_f32 v116, |v6|, |v7|, v116                          // 00000000A0D4: D1D30374 05D20F06
	v_max3_f32 v116, |v8|, |v9|, v116                          // 00000000A0DC: D1D30374 05D21308
	v_max3_f32 v116, |v10|, |v11|, v116                        // 00000000A0E4: D1D30374 05D2170A
	v_max3_f32 v116, |v12|, |v13|, v116                        // 00000000A0EC: D1D30374 05D21B0C
	v_max3_f32 v116, |v14|, |v15|, v116                        // 00000000A0F4: D1D30374 05D21F0E
	v_max3_f32 v116, |v16|, |v17|, v116                        // 00000000A0FC: D1D30374 05D22310
	v_max3_f32 v116, |v18|, |v19|, v116                        // 00000000A104: D1D30374 05D22712
	v_rcp_f32_e32 v116, v116                                   // 00000000A10C: 7EE84574
	v_mov_b32_e32 v4, 0x43700000                               // 00000000A110: 7E0802FF 43700000
	v_mul_f32_e32 v116, v4, v116                               // 00000000A118: 0AE8E904
	v_mov_b32_e32 v4, v116                                     // 00000000A11C: 7E080374
	v_mov_b32_e32 v5, v4                                       // 00000000A120: 7E0A0304
	v_pk_mul_f32 v[68:69], v[4:5], v[68:69]                    // 00000000A124: D3B14044 18028904
	v_pk_mul_f32 v[70:71], v[4:5], v[70:71]                    // 00000000A12C: D3B14046 18028D04
	v_cvt_pk_fp8_f32 v68, v68, v69                             // 00000000A134: D2A20044 00028B44
	v_cvt_pk_fp8_f32 v68, v70, v71 op_sel:[0,0,1]              // 00000000A13C: D2A24044 00028F46
	v_pk_mul_f32 v[92:93], v[4:5], v[92:93]                    // 00000000A144: D3B1405C 1802B904
	v_pk_mul_f32 v[94:95], v[4:5], v[94:95]                    // 00000000A14C: D3B1405E 1802BD04
	v_cvt_pk_fp8_f32 v92, v92, v93                             // 00000000A154: D2A2005C 0002BB5C
	v_cvt_pk_fp8_f32 v92, v94, v95 op_sel:[0,0,1]              // 00000000A15C: D2A2405C 0002BF5E
	v_rcp_f32_e32 v116, v116                                   // 00000000A164: 7EE84574
	v_mov_b32_e32 v117, 0x358637bd                             // 00000000A168: 7EEA02FF 358637BD
	v_max3_f32 v117, |v72|, |v73|, v117                        // 00000000A170: D1D30375 05D69348
	v_max3_f32 v117, |v74|, |v75|, v117                        // 00000000A178: D1D30375 05D6974A
	v_max3_f32 v117, |v96|, |v97|, v117                        // 00000000A180: D1D30375 05D6C360
	v_max3_f32 v117, |v98|, |v99|, v117                        // 00000000A188: D1D30375 05D6C762
	ds_write_b32 v122, v117                                    // 00000000A190: D81A0000 0000757A
	s_waitcnt lgkmcnt(0)                                       // 00000000A198: BF8CC07F
	s_barrier                                                  // 00000000A19C: BF8A0000
	ds_read_b32 v4, v123                                       // 00000000A1A0: D86C0000 0400007B
	ds_read_b32 v5, v123 offset:64                             // 00000000A1A8: D86C0040 0500007B
	ds_read_b32 v6, v123 offset:128                            // 00000000A1B0: D86C0080 0600007B
	ds_read_b32 v7, v123 offset:192                            // 00000000A1B8: D86C00C0 0700007B
	ds_read_b32 v8, v123 offset:256                            // 00000000A1C0: D86C0100 0800007B
	ds_read_b32 v9, v123 offset:320                            // 00000000A1C8: D86C0140 0900007B
	ds_read_b32 v10, v123 offset:384                           // 00000000A1D0: D86C0180 0A00007B
	ds_read_b32 v11, v123 offset:448                           // 00000000A1D8: D86C01C0 0B00007B
	ds_read_b32 v12, v123 offset:512                           // 00000000A1E0: D86C0200 0C00007B
	ds_read_b32 v13, v123 offset:576                           // 00000000A1E8: D86C0240 0D00007B
	ds_read_b32 v14, v123 offset:640                           // 00000000A1F0: D86C0280 0E00007B
	ds_read_b32 v15, v123 offset:704                           // 00000000A1F8: D86C02C0 0F00007B
	ds_read_b32 v16, v123 offset:768                           // 00000000A200: D86C0300 1000007B
	ds_read_b32 v17, v123 offset:832                           // 00000000A208: D86C0340 1100007B
	ds_read_b32 v18, v123 offset:896                           // 00000000A210: D86C0380 1200007B
	ds_read_b32 v19, v123 offset:960                           // 00000000A218: D86C03C0 1300007B
	s_waitcnt lgkmcnt(0)                                       // 00000000A220: BF8CC07F
	s_barrier                                                  // 00000000A224: BF8A0000
	v_max3_f32 v117, |v4|, |v5|, v117                          // 00000000A228: D1D30375 05D60B04
	v_max3_f32 v117, |v6|, |v7|, v117                          // 00000000A230: D1D30375 05D60F06
	v_max3_f32 v117, |v8|, |v9|, v117                          // 00000000A238: D1D30375 05D61308
	v_max3_f32 v117, |v10|, |v11|, v117                        // 00000000A240: D1D30375 05D6170A
	v_max3_f32 v117, |v12|, |v13|, v117                        // 00000000A248: D1D30375 05D61B0C
	v_max3_f32 v117, |v14|, |v15|, v117                        // 00000000A250: D1D30375 05D61F0E
	v_max3_f32 v117, |v16|, |v17|, v117                        // 00000000A258: D1D30375 05D62310
	v_max3_f32 v117, |v18|, |v19|, v117                        // 00000000A260: D1D30375 05D62712
	v_rcp_f32_e32 v117, v117                                   // 00000000A268: 7EEA4575
	v_mov_b32_e32 v4, 0x43700000                               // 00000000A26C: 7E0802FF 43700000
	v_mul_f32_e32 v117, v4, v117                               // 00000000A274: 0AEAEB04
	v_mov_b32_e32 v4, v117                                     // 00000000A278: 7E080375
	v_mov_b32_e32 v5, v4                                       // 00000000A27C: 7E0A0304
	v_pk_mul_f32 v[72:73], v[4:5], v[72:73]                    // 00000000A280: D3B14048 18029104
	v_pk_mul_f32 v[74:75], v[4:5], v[74:75]                    // 00000000A288: D3B1404A 18029504
	v_cvt_pk_fp8_f32 v72, v72, v73                             // 00000000A290: D2A20048 00029348
	v_cvt_pk_fp8_f32 v72, v74, v75 op_sel:[0,0,1]              // 00000000A298: D2A24048 0002974A
	v_pk_mul_f32 v[96:97], v[4:5], v[96:97]                    // 00000000A2A0: D3B14060 1802C104
	v_pk_mul_f32 v[98:99], v[4:5], v[98:99]                    // 00000000A2A8: D3B14062 1802C504
	v_cvt_pk_fp8_f32 v96, v96, v97                             // 00000000A2B0: D2A20060 0002C360
	v_cvt_pk_fp8_f32 v96, v98, v99 op_sel:[0,0,1]              // 00000000A2B8: D2A24060 0002C762
	v_rcp_f32_e32 v117, v117                                   // 00000000A2C0: 7EEA4575
	v_mov_b32_e32 v118, 0x358637bd                             // 00000000A2C4: 7EEC02FF 358637BD
	v_max3_f32 v118, |v76|, |v77|, v118                        // 00000000A2CC: D1D30376 05DA9B4C
	v_max3_f32 v118, |v78|, |v79|, v118                        // 00000000A2D4: D1D30376 05DA9F4E
	v_max3_f32 v118, |v100|, |v101|, v118                      // 00000000A2DC: D1D30376 05DACB64
	v_max3_f32 v118, |v102|, |v103|, v118                      // 00000000A2E4: D1D30376 05DACF66
	ds_write_b32 v122, v118                                    // 00000000A2EC: D81A0000 0000767A
	s_waitcnt lgkmcnt(0)                                       // 00000000A2F4: BF8CC07F
	s_barrier                                                  // 00000000A2F8: BF8A0000
	ds_read_b32 v4, v123                                       // 00000000A2FC: D86C0000 0400007B
	ds_read_b32 v5, v123 offset:64                             // 00000000A304: D86C0040 0500007B
	ds_read_b32 v6, v123 offset:128                            // 00000000A30C: D86C0080 0600007B
	ds_read_b32 v7, v123 offset:192                            // 00000000A314: D86C00C0 0700007B
	ds_read_b32 v8, v123 offset:256                            // 00000000A31C: D86C0100 0800007B
	ds_read_b32 v9, v123 offset:320                            // 00000000A324: D86C0140 0900007B
	ds_read_b32 v10, v123 offset:384                           // 00000000A32C: D86C0180 0A00007B
	ds_read_b32 v11, v123 offset:448                           // 00000000A334: D86C01C0 0B00007B
	ds_read_b32 v12, v123 offset:512                           // 00000000A33C: D86C0200 0C00007B
	ds_read_b32 v13, v123 offset:576                           // 00000000A344: D86C0240 0D00007B
	ds_read_b32 v14, v123 offset:640                           // 00000000A34C: D86C0280 0E00007B
	ds_read_b32 v15, v123 offset:704                           // 00000000A354: D86C02C0 0F00007B
	ds_read_b32 v16, v123 offset:768                           // 00000000A35C: D86C0300 1000007B
	ds_read_b32 v17, v123 offset:832                           // 00000000A364: D86C0340 1100007B
	ds_read_b32 v18, v123 offset:896                           // 00000000A36C: D86C0380 1200007B
	ds_read_b32 v19, v123 offset:960                           // 00000000A374: D86C03C0 1300007B
	s_waitcnt lgkmcnt(0)                                       // 00000000A37C: BF8CC07F
	s_barrier                                                  // 00000000A380: BF8A0000
	v_max3_f32 v118, |v4|, |v5|, v118                          // 00000000A384: D1D30376 05DA0B04
	v_max3_f32 v118, |v6|, |v7|, v118                          // 00000000A38C: D1D30376 05DA0F06
	v_max3_f32 v118, |v8|, |v9|, v118                          // 00000000A394: D1D30376 05DA1308
	v_max3_f32 v118, |v10|, |v11|, v118                        // 00000000A39C: D1D30376 05DA170A
	v_max3_f32 v118, |v12|, |v13|, v118                        // 00000000A3A4: D1D30376 05DA1B0C
	v_max3_f32 v118, |v14|, |v15|, v118                        // 00000000A3AC: D1D30376 05DA1F0E
	v_max3_f32 v118, |v16|, |v17|, v118                        // 00000000A3B4: D1D30376 05DA2310
	v_max3_f32 v118, |v18|, |v19|, v118                        // 00000000A3BC: D1D30376 05DA2712
	v_rcp_f32_e32 v118, v118                                   // 00000000A3C4: 7EEC4576
	v_mov_b32_e32 v4, 0x43700000                               // 00000000A3C8: 7E0802FF 43700000
	v_mul_f32_e32 v118, v4, v118                               // 00000000A3D0: 0AECED04
	v_mov_b32_e32 v4, v118                                     // 00000000A3D4: 7E080376
	v_mov_b32_e32 v5, v4                                       // 00000000A3D8: 7E0A0304
	v_pk_mul_f32 v[76:77], v[4:5], v[76:77]                    // 00000000A3DC: D3B1404C 18029904
	v_pk_mul_f32 v[78:79], v[4:5], v[78:79]                    // 00000000A3E4: D3B1404E 18029D04
	v_cvt_pk_fp8_f32 v76, v76, v77                             // 00000000A3EC: D2A2004C 00029B4C
	v_cvt_pk_fp8_f32 v76, v78, v79 op_sel:[0,0,1]              // 00000000A3F4: D2A2404C 00029F4E
	v_pk_mul_f32 v[100:101], v[4:5], v[100:101]                // 00000000A3FC: D3B14064 1802C904
	v_pk_mul_f32 v[102:103], v[4:5], v[102:103]                // 00000000A404: D3B14066 1802CD04
	v_cvt_pk_fp8_f32 v100, v100, v101                          // 00000000A40C: D2A20064 0002CB64
	v_cvt_pk_fp8_f32 v100, v102, v103 op_sel:[0,0,1]           // 00000000A414: D2A24064 0002CF66
	v_rcp_f32_e32 v118, v118                                   // 00000000A41C: 7EEC4576
	v_mov_b32_e32 v119, 0x358637bd                             // 00000000A420: 7EEE02FF 358637BD
	v_max3_f32 v119, |v80|, |v81|, v119                        // 00000000A428: D1D30377 05DEA350
	v_max3_f32 v119, |v82|, |v83|, v119                        // 00000000A430: D1D30377 05DEA752
	v_max3_f32 v119, |v104|, |v105|, v119                      // 00000000A438: D1D30377 05DED368
	v_max3_f32 v119, |v106|, |v107|, v119                      // 00000000A440: D1D30377 05DED76A
	ds_write_b32 v122, v119                                    // 00000000A448: D81A0000 0000777A
	s_waitcnt lgkmcnt(0)                                       // 00000000A450: BF8CC07F
	s_barrier                                                  // 00000000A454: BF8A0000
	ds_read_b32 v4, v123                                       // 00000000A458: D86C0000 0400007B
	ds_read_b32 v5, v123 offset:64                             // 00000000A460: D86C0040 0500007B
	ds_read_b32 v6, v123 offset:128                            // 00000000A468: D86C0080 0600007B
	ds_read_b32 v7, v123 offset:192                            // 00000000A470: D86C00C0 0700007B
	ds_read_b32 v8, v123 offset:256                            // 00000000A478: D86C0100 0800007B
	ds_read_b32 v9, v123 offset:320                            // 00000000A480: D86C0140 0900007B
	ds_read_b32 v10, v123 offset:384                           // 00000000A488: D86C0180 0A00007B
	ds_read_b32 v11, v123 offset:448                           // 00000000A490: D86C01C0 0B00007B
	ds_read_b32 v12, v123 offset:512                           // 00000000A498: D86C0200 0C00007B
	ds_read_b32 v13, v123 offset:576                           // 00000000A4A0: D86C0240 0D00007B
	ds_read_b32 v14, v123 offset:640                           // 00000000A4A8: D86C0280 0E00007B
	ds_read_b32 v15, v123 offset:704                           // 00000000A4B0: D86C02C0 0F00007B
	ds_read_b32 v16, v123 offset:768                           // 00000000A4B8: D86C0300 1000007B
	ds_read_b32 v17, v123 offset:832                           // 00000000A4C0: D86C0340 1100007B
	ds_read_b32 v18, v123 offset:896                           // 00000000A4C8: D86C0380 1200007B
	ds_read_b32 v19, v123 offset:960                           // 00000000A4D0: D86C03C0 1300007B
	s_waitcnt lgkmcnt(0)                                       // 00000000A4D8: BF8CC07F
	s_barrier                                                  // 00000000A4DC: BF8A0000
	v_max3_f32 v119, |v4|, |v5|, v119                          // 00000000A4E0: D1D30377 05DE0B04
	v_max3_f32 v119, |v6|, |v7|, v119                          // 00000000A4E8: D1D30377 05DE0F06
	v_max3_f32 v119, |v8|, |v9|, v119                          // 00000000A4F0: D1D30377 05DE1308
	v_max3_f32 v119, |v10|, |v11|, v119                        // 00000000A4F8: D1D30377 05DE170A
	v_max3_f32 v119, |v12|, |v13|, v119                        // 00000000A500: D1D30377 05DE1B0C
	v_max3_f32 v119, |v14|, |v15|, v119                        // 00000000A508: D1D30377 05DE1F0E
	v_max3_f32 v119, |v16|, |v17|, v119                        // 00000000A510: D1D30377 05DE2310
	v_max3_f32 v119, |v18|, |v19|, v119                        // 00000000A518: D1D30377 05DE2712
	v_rcp_f32_e32 v119, v119                                   // 00000000A520: 7EEE4577
	v_mov_b32_e32 v4, 0x43700000                               // 00000000A524: 7E0802FF 43700000
	v_mul_f32_e32 v119, v4, v119                               // 00000000A52C: 0AEEEF04
	v_mov_b32_e32 v4, v119                                     // 00000000A530: 7E080377
	v_mov_b32_e32 v5, v4                                       // 00000000A534: 7E0A0304
	v_pk_mul_f32 v[80:81], v[4:5], v[80:81]                    // 00000000A538: D3B14050 1802A104
	v_pk_mul_f32 v[82:83], v[4:5], v[82:83]                    // 00000000A540: D3B14052 1802A504
	v_cvt_pk_fp8_f32 v80, v80, v81                             // 00000000A548: D2A20050 0002A350
	v_cvt_pk_fp8_f32 v80, v82, v83 op_sel:[0,0,1]              // 00000000A550: D2A24050 0002A752
	v_pk_mul_f32 v[104:105], v[4:5], v[104:105]                // 00000000A558: D3B14068 1802D104
	v_pk_mul_f32 v[106:107], v[4:5], v[106:107]                // 00000000A560: D3B1406A 1802D504
	v_cvt_pk_fp8_f32 v104, v104, v105                          // 00000000A568: D2A20068 0002D368
	v_cvt_pk_fp8_f32 v104, v106, v107 op_sel:[0,0,1]           // 00000000A570: D2A24068 0002D76A
	v_rcp_f32_e32 v119, v119                                   // 00000000A578: 7EEE4577
	v_mov_b32_e32 v120, 0x358637bd                             // 00000000A57C: 7EF002FF 358637BD
	v_max3_f32 v120, |v84|, |v85|, v120                        // 00000000A584: D1D30378 05E2AB54
	v_max3_f32 v120, |v86|, |v87|, v120                        // 00000000A58C: D1D30378 05E2AF56
	v_max3_f32 v120, |v108|, |v109|, v120                      // 00000000A594: D1D30378 05E2DB6C
	v_max3_f32 v120, |v110|, |v111|, v120                      // 00000000A59C: D1D30378 05E2DF6E
	ds_write_b32 v122, v120                                    // 00000000A5A4: D81A0000 0000787A
	s_waitcnt lgkmcnt(0)                                       // 00000000A5AC: BF8CC07F
	s_barrier                                                  // 00000000A5B0: BF8A0000
	ds_read_b32 v4, v123                                       // 00000000A5B4: D86C0000 0400007B
	ds_read_b32 v5, v123 offset:64                             // 00000000A5BC: D86C0040 0500007B
	ds_read_b32 v6, v123 offset:128                            // 00000000A5C4: D86C0080 0600007B
	ds_read_b32 v7, v123 offset:192                            // 00000000A5CC: D86C00C0 0700007B
	ds_read_b32 v8, v123 offset:256                            // 00000000A5D4: D86C0100 0800007B
	ds_read_b32 v9, v123 offset:320                            // 00000000A5DC: D86C0140 0900007B
	ds_read_b32 v10, v123 offset:384                           // 00000000A5E4: D86C0180 0A00007B
	ds_read_b32 v11, v123 offset:448                           // 00000000A5EC: D86C01C0 0B00007B
	ds_read_b32 v12, v123 offset:512                           // 00000000A5F4: D86C0200 0C00007B
	ds_read_b32 v13, v123 offset:576                           // 00000000A5FC: D86C0240 0D00007B
	ds_read_b32 v14, v123 offset:640                           // 00000000A604: D86C0280 0E00007B
	ds_read_b32 v15, v123 offset:704                           // 00000000A60C: D86C02C0 0F00007B
	ds_read_b32 v16, v123 offset:768                           // 00000000A614: D86C0300 1000007B
	ds_read_b32 v17, v123 offset:832                           // 00000000A61C: D86C0340 1100007B
	ds_read_b32 v18, v123 offset:896                           // 00000000A624: D86C0380 1200007B
	ds_read_b32 v19, v123 offset:960                           // 00000000A62C: D86C03C0 1300007B
	s_waitcnt lgkmcnt(0)                                       // 00000000A634: BF8CC07F
	s_barrier                                                  // 00000000A638: BF8A0000
	v_max3_f32 v120, |v4|, |v5|, v120                          // 00000000A63C: D1D30378 05E20B04
	v_max3_f32 v120, |v6|, |v7|, v120                          // 00000000A644: D1D30378 05E20F06
	v_max3_f32 v120, |v8|, |v9|, v120                          // 00000000A64C: D1D30378 05E21308
	v_max3_f32 v120, |v10|, |v11|, v120                        // 00000000A654: D1D30378 05E2170A
	v_max3_f32 v120, |v12|, |v13|, v120                        // 00000000A65C: D1D30378 05E21B0C
	v_max3_f32 v120, |v14|, |v15|, v120                        // 00000000A664: D1D30378 05E21F0E
	v_max3_f32 v120, |v16|, |v17|, v120                        // 00000000A66C: D1D30378 05E22310
	v_max3_f32 v120, |v18|, |v19|, v120                        // 00000000A674: D1D30378 05E22712
	v_rcp_f32_e32 v120, v120                                   // 00000000A67C: 7EF04578
	v_mov_b32_e32 v4, 0x43700000                               // 00000000A680: 7E0802FF 43700000
	v_mul_f32_e32 v120, v4, v120                               // 00000000A688: 0AF0F104
	v_mov_b32_e32 v4, v120                                     // 00000000A68C: 7E080378
	v_mov_b32_e32 v5, v4                                       // 00000000A690: 7E0A0304
	v_pk_mul_f32 v[84:85], v[4:5], v[84:85]                    // 00000000A694: D3B14054 1802A904
	v_pk_mul_f32 v[86:87], v[4:5], v[86:87]                    // 00000000A69C: D3B14056 1802AD04
	v_cvt_pk_fp8_f32 v84, v84, v85                             // 00000000A6A4: D2A20054 0002AB54
	v_cvt_pk_fp8_f32 v84, v86, v87 op_sel:[0,0,1]              // 00000000A6AC: D2A24054 0002AF56
	v_pk_mul_f32 v[108:109], v[4:5], v[108:109]                // 00000000A6B4: D3B1406C 1802D904
	v_pk_mul_f32 v[110:111], v[4:5], v[110:111]                // 00000000A6BC: D3B1406E 1802DD04
	v_cvt_pk_fp8_f32 v108, v108, v109                          // 00000000A6C4: D2A2006C 0002DB6C
	v_cvt_pk_fp8_f32 v108, v110, v111 op_sel:[0,0,1]           // 00000000A6CC: D2A2406C 0002DF6E
	v_rcp_f32_e32 v120, v120                                   // 00000000A6D4: 7EF04578
	v_mov_b32_e32 v121, 0x358637bd                             // 00000000A6D8: 7EF202FF 358637BD
	v_max3_f32 v121, |v88|, |v89|, v121                        // 00000000A6E0: D1D30379 05E6B358
	v_max3_f32 v121, |v90|, |v91|, v121                        // 00000000A6E8: D1D30379 05E6B75A
	v_max3_f32 v121, |v112|, |v113|, v121                      // 00000000A6F0: D1D30379 05E6E370
	v_max3_f32 v121, |v114|, |v115|, v121                      // 00000000A6F8: D1D30379 05E6E772
	ds_write_b32 v122, v121                                    // 00000000A700: D81A0000 0000797A
	s_waitcnt lgkmcnt(0)                                       // 00000000A708: BF8CC07F
	s_barrier                                                  // 00000000A70C: BF8A0000
	ds_read_b32 v4, v123                                       // 00000000A710: D86C0000 0400007B
	ds_read_b32 v5, v123 offset:64                             // 00000000A718: D86C0040 0500007B
	ds_read_b32 v6, v123 offset:128                            // 00000000A720: D86C0080 0600007B
	ds_read_b32 v7, v123 offset:192                            // 00000000A728: D86C00C0 0700007B
	ds_read_b32 v8, v123 offset:256                            // 00000000A730: D86C0100 0800007B
	ds_read_b32 v9, v123 offset:320                            // 00000000A738: D86C0140 0900007B
	ds_read_b32 v10, v123 offset:384                           // 00000000A740: D86C0180 0A00007B
	ds_read_b32 v11, v123 offset:448                           // 00000000A748: D86C01C0 0B00007B
	ds_read_b32 v12, v123 offset:512                           // 00000000A750: D86C0200 0C00007B
	ds_read_b32 v13, v123 offset:576                           // 00000000A758: D86C0240 0D00007B
	ds_read_b32 v14, v123 offset:640                           // 00000000A760: D86C0280 0E00007B
	ds_read_b32 v15, v123 offset:704                           // 00000000A768: D86C02C0 0F00007B
	ds_read_b32 v16, v123 offset:768                           // 00000000A770: D86C0300 1000007B
	ds_read_b32 v17, v123 offset:832                           // 00000000A778: D86C0340 1100007B
	ds_read_b32 v18, v123 offset:896                           // 00000000A780: D86C0380 1200007B
	ds_read_b32 v19, v123 offset:960                           // 00000000A788: D86C03C0 1300007B
	s_waitcnt lgkmcnt(0)                                       // 00000000A790: BF8CC07F
	s_barrier                                                  // 00000000A794: BF8A0000
	v_max3_f32 v121, |v4|, |v5|, v121                          // 00000000A798: D1D30379 05E60B04
	v_max3_f32 v121, |v6|, |v7|, v121                          // 00000000A7A0: D1D30379 05E60F06
	v_max3_f32 v121, |v8|, |v9|, v121                          // 00000000A7A8: D1D30379 05E61308
	v_max3_f32 v121, |v10|, |v11|, v121                        // 00000000A7B0: D1D30379 05E6170A
	v_max3_f32 v121, |v12|, |v13|, v121                        // 00000000A7B8: D1D30379 05E61B0C
	v_max3_f32 v121, |v14|, |v15|, v121                        // 00000000A7C0: D1D30379 05E61F0E
	v_max3_f32 v121, |v16|, |v17|, v121                        // 00000000A7C8: D1D30379 05E62310
	v_max3_f32 v121, |v18|, |v19|, v121                        // 00000000A7D0: D1D30379 05E62712
	v_rcp_f32_e32 v121, v121                                   // 00000000A7D8: 7EF24579
	v_mov_b32_e32 v4, 0x43700000                               // 00000000A7DC: 7E0802FF 43700000
	v_mul_f32_e32 v121, v4, v121                               // 00000000A7E4: 0AF2F304
	v_mov_b32_e32 v4, v121                                     // 00000000A7E8: 7E080379
	v_mov_b32_e32 v5, v4                                       // 00000000A7EC: 7E0A0304
	v_pk_mul_f32 v[88:89], v[4:5], v[88:89]                    // 00000000A7F0: D3B14058 1802B104
	v_pk_mul_f32 v[90:91], v[4:5], v[90:91]                    // 00000000A7F8: D3B1405A 1802B504
	v_cvt_pk_fp8_f32 v88, v88, v89                             // 00000000A800: D2A20058 0002B358
	v_cvt_pk_fp8_f32 v88, v90, v91 op_sel:[0,0,1]              // 00000000A808: D2A24058 0002B75A
	v_pk_mul_f32 v[112:113], v[4:5], v[112:113]                // 00000000A810: D3B14070 1802E104
	v_pk_mul_f32 v[114:115], v[4:5], v[114:115]                // 00000000A818: D3B14072 1802E504
	v_cvt_pk_fp8_f32 v112, v112, v113                          // 00000000A820: D2A20070 0002E370
	v_cvt_pk_fp8_f32 v112, v114, v115 op_sel:[0,0,1]           // 00000000A828: D2A24070 0002E772
	v_rcp_f32_e32 v121, v121                                   // 00000000A830: 7EF24579
	v_lshrrev_b32_e32 v4, 5, v0                                // 00000000A834: 20080085
	v_mul_lo_u32 v20, 34, v4                                   // 00000000A838: D2850014 000208A2
	v_and_b32_e32 v4, 31, v0                                   // 00000000A840: 2608009F
	v_lshrrev_b32_e32 v5, 4, v4                                // 00000000A844: 200A0884
	v_add_u32_e32 v20, v5, v20                                 // 00000000A848: 68282905
	v_and_b32_e32 v4, 15, v0                                   // 00000000A84C: 2608008F
	v_mul_lo_u32 v5, 2, v4                                     // 00000000A850: D2850005 00020882
	v_add_u32_e32 v20, v5, v20                                 // 00000000A858: 68282905
	s_mul_i32 s60, s7, 0x44                                    // 00000000A85C: 923CFF07 00000044
	v_add_u32_e32 v20, s60, v20                                // 00000000A864: 6828283C
	v_lshlrev_b32_e32 v20, 2, v20                              // 00000000A868: 24282882
	ds_write_b32 v20, v68                                      // 00000000A86C: D81A0000 00004414
	ds_write_b32 v20, v72 offset:2176                          // 00000000A874: D81A0880 00004814
	ds_write_b32 v20, v76 offset:4352                          // 00000000A87C: D81A1100 00004C14
	ds_write_b32 v20, v80 offset:6528                          // 00000000A884: D81A1980 00005014
	ds_write_b32 v20, v84 offset:8704                          // 00000000A88C: D81A2200 00005414
	ds_write_b32 v20, v88 offset:10880                         // 00000000A894: D81A2A80 00005814
	ds_write_b32 v20, v92 offset:1088                          // 00000000A89C: D81A0440 00005C14
	ds_write_b32 v20, v96 offset:3264                          // 00000000A8A4: D81A0CC0 00006014
	ds_write_b32 v20, v100 offset:5440                         // 00000000A8AC: D81A1540 00006414
	ds_write_b32 v20, v104 offset:7616                         // 00000000A8B4: D81A1DC0 00006814
	ds_write_b32 v20, v108 offset:9792                         // 00000000A8BC: D81A2640 00006C14
	ds_write_b32 v20, v112 offset:11968                        // 00000000A8C4: D81A2EC0 00007014
	v_lshrrev_b32_e32 v4, 5, v0                                // 00000000A8CC: 20080085
	v_xor_b32_e32 v5, 1, v4                                    // 00000000A8D0: 2A0A0881
	s_mul_i32 s60, s65, 1                                      // 00000000A8D4: 923C8141
	s_cmp_eq_u32 s88, 0                                        // 00000000A8D8: BF068058
	s_cselect_b32 s61, 1, 8                                    // 00000000A8DC: 853D8881
	s_mul_i32 s60, s61, s60                                    // 00000000A8E0: 923C3C3D
	v_readlane_b32 s82, v3, 0                                  // 00000000A8E4: D2890052 00010103
	s_lshr_b32 s61, s82, 24                                    // 00000000A8EC: 8F3D9852
	s_and_b32 s82, s82, 0xffffff                               // 00000000A8F0: 8652FF52 00FFFFFF
	s_mul_i32 s82, s82, s71                                    // 00000000A8F8: 92524752
	s_mul_i32 s61, s60, s61                                    // 00000000A8FC: 923D3D3C
	s_add_u32 s82, s82, s61                                    // 00000000A900: 80523D52
	v_mul_lo_u32 v6, v5, s82                                   // 00000000A904: D2850006 0000A505
	v_readlane_b32 s82, v3, 1                                  // 00000000A90C: D2890052 00010303
	s_lshr_b32 s61, s82, 24                                    // 00000000A914: 8F3D9852
	s_and_b32 s82, s82, 0xffffff                               // 00000000A918: 8652FF52 00FFFFFF
	s_mul_i32 s82, s82, s71                                    // 00000000A920: 92524752
	s_mul_i32 s61, s60, s61                                    // 00000000A924: 923D3D3C
	s_add_u32 s82, s82, s61                                    // 00000000A928: 80523D52
	v_mul_lo_u32 v7, v4, s82                                   // 00000000A92C: D2850007 0000A504
	v_add_u32_e32 v52, v6, v7                                  // 00000000A934: 68680F06
	v_readlane_b32 s82, v3, 2                                  // 00000000A938: D2890052 00010503
	s_lshr_b32 s61, s82, 24                                    // 00000000A940: 8F3D9852
	s_and_b32 s82, s82, 0xffffff                               // 00000000A944: 8652FF52 00FFFFFF
	s_mul_i32 s82, s82, s71                                    // 00000000A94C: 92524752
	s_mul_i32 s61, s60, s61                                    // 00000000A950: 923D3D3C
	s_add_u32 s82, s82, s61                                    // 00000000A954: 80523D52
	v_mul_lo_u32 v6, v5, s82                                   // 00000000A958: D2850006 0000A505
	v_readlane_b32 s82, v3, 3                                  // 00000000A960: D2890052 00010703
	s_lshr_b32 s61, s82, 24                                    // 00000000A968: 8F3D9852
	s_and_b32 s82, s82, 0xffffff                               // 00000000A96C: 8652FF52 00FFFFFF
	s_mul_i32 s82, s82, s71                                    // 00000000A974: 92524752
	s_mul_i32 s61, s60, s61                                    // 00000000A978: 923D3D3C
	s_add_u32 s82, s82, s61                                    // 00000000A97C: 80523D52
	v_mul_lo_u32 v7, v4, s82                                   // 00000000A980: D2850007 0000A504
	v_add_u32_e32 v53, v6, v7                                  // 00000000A988: 686A0F06
	v_readlane_b32 s82, v3, 4                                  // 00000000A98C: D2890052 00010903
	s_lshr_b32 s61, s82, 24                                    // 00000000A994: 8F3D9852
	s_and_b32 s82, s82, 0xffffff                               // 00000000A998: 8652FF52 00FFFFFF
	s_mul_i32 s82, s82, s71                                    // 00000000A9A0: 92524752
	s_mul_i32 s61, s60, s61                                    // 00000000A9A4: 923D3D3C
	s_add_u32 s82, s82, s61                                    // 00000000A9A8: 80523D52
	v_mul_lo_u32 v6, v5, s82                                   // 00000000A9AC: D2850006 0000A505
	v_readlane_b32 s82, v3, 5                                  // 00000000A9B4: D2890052 00010B03
	s_lshr_b32 s61, s82, 24                                    // 00000000A9BC: 8F3D9852
	s_and_b32 s82, s82, 0xffffff                               // 00000000A9C0: 8652FF52 00FFFFFF
	s_mul_i32 s82, s82, s71                                    // 00000000A9C8: 92524752
	s_mul_i32 s61, s60, s61                                    // 00000000A9CC: 923D3D3C
	s_add_u32 s82, s82, s61                                    // 00000000A9D0: 80523D52
	v_mul_lo_u32 v7, v4, s82                                   // 00000000A9D4: D2850007 0000A504
	v_add_u32_e32 v54, v6, v7                                  // 00000000A9DC: 686C0F06
	v_readlane_b32 s82, v3, 6                                  // 00000000A9E0: D2890052 00010D03
	s_lshr_b32 s61, s82, 24                                    // 00000000A9E8: 8F3D9852
	s_and_b32 s82, s82, 0xffffff                               // 00000000A9EC: 8652FF52 00FFFFFF
	s_mul_i32 s82, s82, s71                                    // 00000000A9F4: 92524752
	s_mul_i32 s61, s60, s61                                    // 00000000A9F8: 923D3D3C
	s_add_u32 s82, s82, s61                                    // 00000000A9FC: 80523D52
	v_mul_lo_u32 v6, v5, s82                                   // 00000000AA00: D2850006 0000A505
	v_readlane_b32 s82, v3, 7                                  // 00000000AA08: D2890052 00010F03
	s_lshr_b32 s61, s82, 24                                    // 00000000AA10: 8F3D9852
	s_and_b32 s82, s82, 0xffffff                               // 00000000AA14: 8652FF52 00FFFFFF
	s_mul_i32 s82, s82, s71                                    // 00000000AA1C: 92524752
	s_mul_i32 s61, s60, s61                                    // 00000000AA20: 923D3D3C
	s_add_u32 s82, s82, s61                                    // 00000000AA24: 80523D52
	v_mul_lo_u32 v7, v4, s82                                   // 00000000AA28: D2850007 0000A504
	v_add_u32_e32 v55, v6, v7                                  // 00000000AA30: 686E0F06
	v_readlane_b32 s82, v3, 8                                  // 00000000AA34: D2890052 00011103
	s_lshr_b32 s61, s82, 24                                    // 00000000AA3C: 8F3D9852
	s_and_b32 s82, s82, 0xffffff                               // 00000000AA40: 8652FF52 00FFFFFF
	s_mul_i32 s82, s82, s71                                    // 00000000AA48: 92524752
	s_mul_i32 s61, s60, s61                                    // 00000000AA4C: 923D3D3C
	s_add_u32 s82, s82, s61                                    // 00000000AA50: 80523D52
	v_mul_lo_u32 v6, v5, s82                                   // 00000000AA54: D2850006 0000A505
	v_readlane_b32 s82, v3, 9                                  // 00000000AA5C: D2890052 00011303
	s_lshr_b32 s61, s82, 24                                    // 00000000AA64: 8F3D9852
	s_and_b32 s82, s82, 0xffffff                               // 00000000AA68: 8652FF52 00FFFFFF
	s_mul_i32 s82, s82, s71                                    // 00000000AA70: 92524752
	s_mul_i32 s61, s60, s61                                    // 00000000AA74: 923D3D3C
	s_add_u32 s82, s82, s61                                    // 00000000AA78: 80523D52
	v_mul_lo_u32 v7, v4, s82                                   // 00000000AA7C: D2850007 0000A504
	v_add_u32_e32 v56, v6, v7                                  // 00000000AA84: 68700F06
	v_readlane_b32 s82, v3, 10                                 // 00000000AA88: D2890052 00011503
	s_lshr_b32 s61, s82, 24                                    // 00000000AA90: 8F3D9852
	s_and_b32 s82, s82, 0xffffff                               // 00000000AA94: 8652FF52 00FFFFFF
	s_mul_i32 s82, s82, s71                                    // 00000000AA9C: 92524752
	s_mul_i32 s61, s60, s61                                    // 00000000AAA0: 923D3D3C
	s_add_u32 s82, s82, s61                                    // 00000000AAA4: 80523D52
	v_mul_lo_u32 v6, v5, s82                                   // 00000000AAA8: D2850006 0000A505
	v_readlane_b32 s82, v3, 11                                 // 00000000AAB0: D2890052 00011703
	s_lshr_b32 s61, s82, 24                                    // 00000000AAB8: 8F3D9852
	s_and_b32 s82, s82, 0xffffff                               // 00000000AABC: 8652FF52 00FFFFFF
	s_mul_i32 s82, s82, s71                                    // 00000000AAC4: 92524752
	s_mul_i32 s61, s60, s61                                    // 00000000AAC8: 923D3D3C
	s_add_u32 s82, s82, s61                                    // 00000000AACC: 80523D52
	v_mul_lo_u32 v7, v4, s82                                   // 00000000AAD0: D2850007 0000A504
	v_add_u32_e32 v57, v6, v7                                  // 00000000AAD8: 68720F06
	v_readlane_b32 s82, v3, 12                                 // 00000000AADC: D2890052 00011903
	s_lshr_b32 s61, s82, 24                                    // 00000000AAE4: 8F3D9852
	s_and_b32 s82, s82, 0xffffff                               // 00000000AAE8: 8652FF52 00FFFFFF
	s_mul_i32 s82, s82, s71                                    // 00000000AAF0: 92524752
	s_mul_i32 s61, s60, s61                                    // 00000000AAF4: 923D3D3C
	s_add_u32 s82, s82, s61                                    // 00000000AAF8: 80523D52
	v_mul_lo_u32 v6, v5, s82                                   // 00000000AAFC: D2850006 0000A505
	v_readlane_b32 s82, v3, 13                                 // 00000000AB04: D2890052 00011B03
	s_lshr_b32 s61, s82, 24                                    // 00000000AB0C: 8F3D9852
	s_and_b32 s82, s82, 0xffffff                               // 00000000AB10: 8652FF52 00FFFFFF
	s_mul_i32 s82, s82, s71                                    // 00000000AB18: 92524752
	s_mul_i32 s61, s60, s61                                    // 00000000AB1C: 923D3D3C
	s_add_u32 s82, s82, s61                                    // 00000000AB20: 80523D52
	v_mul_lo_u32 v7, v4, s82                                   // 00000000AB24: D2850007 0000A504
	v_add_u32_e32 v58, v6, v7                                  // 00000000AB2C: 68740F06
	v_readlane_b32 s82, v3, 14                                 // 00000000AB30: D2890052 00011D03
	s_lshr_b32 s61, s82, 24                                    // 00000000AB38: 8F3D9852
	s_and_b32 s82, s82, 0xffffff                               // 00000000AB3C: 8652FF52 00FFFFFF
	s_mul_i32 s82, s82, s71                                    // 00000000AB44: 92524752
	s_mul_i32 s61, s60, s61                                    // 00000000AB48: 923D3D3C
	s_add_u32 s82, s82, s61                                    // 00000000AB4C: 80523D52
	v_mul_lo_u32 v6, v5, s82                                   // 00000000AB50: D2850006 0000A505
	v_readlane_b32 s82, v3, 15                                 // 00000000AB58: D2890052 00011F03
	s_lshr_b32 s61, s82, 24                                    // 00000000AB60: 8F3D9852
	s_and_b32 s82, s82, 0xffffff                               // 00000000AB64: 8652FF52 00FFFFFF
	s_mul_i32 s82, s82, s71                                    // 00000000AB6C: 92524752
	s_mul_i32 s61, s60, s61                                    // 00000000AB70: 923D3D3C
	s_add_u32 s82, s82, s61                                    // 00000000AB74: 80523D52
	v_mul_lo_u32 v7, v4, s82                                   // 00000000AB78: D2850007 0000A504
	v_add_u32_e32 v59, v6, v7                                  // 00000000AB80: 68760F06
	v_readlane_b32 s82, v3, 16                                 // 00000000AB84: D2890052 00012103
	s_lshr_b32 s61, s82, 24                                    // 00000000AB8C: 8F3D9852
	s_and_b32 s82, s82, 0xffffff                               // 00000000AB90: 8652FF52 00FFFFFF
	s_mul_i32 s82, s82, s71                                    // 00000000AB98: 92524752
	s_mul_i32 s61, s60, s61                                    // 00000000AB9C: 923D3D3C
	s_add_u32 s82, s82, s61                                    // 00000000ABA0: 80523D52
	v_mul_lo_u32 v6, v5, s82                                   // 00000000ABA4: D2850006 0000A505
	v_readlane_b32 s82, v3, 17                                 // 00000000ABAC: D2890052 00012303
	s_lshr_b32 s61, s82, 24                                    // 00000000ABB4: 8F3D9852
	s_and_b32 s82, s82, 0xffffff                               // 00000000ABB8: 8652FF52 00FFFFFF
	s_mul_i32 s82, s82, s71                                    // 00000000ABC0: 92524752
	s_mul_i32 s61, s60, s61                                    // 00000000ABC4: 923D3D3C
	s_add_u32 s82, s82, s61                                    // 00000000ABC8: 80523D52
	v_mul_lo_u32 v7, v4, s82                                   // 00000000ABCC: D2850007 0000A504
	v_add_u32_e32 v60, v6, v7                                  // 00000000ABD4: 68780F06
	v_readlane_b32 s82, v3, 18                                 // 00000000ABD8: D2890052 00012503
	s_lshr_b32 s61, s82, 24                                    // 00000000ABE0: 8F3D9852
	s_and_b32 s82, s82, 0xffffff                               // 00000000ABE4: 8652FF52 00FFFFFF
	s_mul_i32 s82, s82, s71                                    // 00000000ABEC: 92524752
	s_mul_i32 s61, s60, s61                                    // 00000000ABF0: 923D3D3C
	s_add_u32 s82, s82, s61                                    // 00000000ABF4: 80523D52
	v_mul_lo_u32 v6, v5, s82                                   // 00000000ABF8: D2850006 0000A505
	v_readlane_b32 s82, v3, 19                                 // 00000000AC00: D2890052 00012703
	s_lshr_b32 s61, s82, 24                                    // 00000000AC08: 8F3D9852
	s_and_b32 s82, s82, 0xffffff                               // 00000000AC0C: 8652FF52 00FFFFFF
	s_mul_i32 s82, s82, s71                                    // 00000000AC14: 92524752
	s_mul_i32 s61, s60, s61                                    // 00000000AC18: 923D3D3C
	s_add_u32 s82, s82, s61                                    // 00000000AC1C: 80523D52
	v_mul_lo_u32 v7, v4, s82                                   // 00000000AC20: D2850007 0000A504
	v_add_u32_e32 v61, v6, v7                                  // 00000000AC28: 687A0F06
	v_readlane_b32 s82, v3, 20                                 // 00000000AC2C: D2890052 00012903
	s_lshr_b32 s61, s82, 24                                    // 00000000AC34: 8F3D9852
	s_and_b32 s82, s82, 0xffffff                               // 00000000AC38: 8652FF52 00FFFFFF
	s_mul_i32 s82, s82, s71                                    // 00000000AC40: 92524752
	s_mul_i32 s61, s60, s61                                    // 00000000AC44: 923D3D3C
	s_add_u32 s82, s82, s61                                    // 00000000AC48: 80523D52
	v_mul_lo_u32 v6, v5, s82                                   // 00000000AC4C: D2850006 0000A505
	v_readlane_b32 s82, v3, 21                                 // 00000000AC54: D2890052 00012B03
	s_lshr_b32 s61, s82, 24                                    // 00000000AC5C: 8F3D9852
	s_and_b32 s82, s82, 0xffffff                               // 00000000AC60: 8652FF52 00FFFFFF
	s_mul_i32 s82, s82, s71                                    // 00000000AC68: 92524752
	s_mul_i32 s61, s60, s61                                    // 00000000AC6C: 923D3D3C
	s_add_u32 s82, s82, s61                                    // 00000000AC70: 80523D52
	v_mul_lo_u32 v7, v4, s82                                   // 00000000AC74: D2850007 0000A504
	v_add_u32_e32 v62, v6, v7                                  // 00000000AC7C: 687C0F06
	v_readlane_b32 s82, v3, 22                                 // 00000000AC80: D2890052 00012D03
	s_lshr_b32 s61, s82, 24                                    // 00000000AC88: 8F3D9852
	s_and_b32 s82, s82, 0xffffff                               // 00000000AC8C: 8652FF52 00FFFFFF
	s_mul_i32 s82, s82, s71                                    // 00000000AC94: 92524752
	s_mul_i32 s61, s60, s61                                    // 00000000AC98: 923D3D3C
	s_add_u32 s82, s82, s61                                    // 00000000AC9C: 80523D52
	v_mul_lo_u32 v6, v5, s82                                   // 00000000ACA0: D2850006 0000A505
	v_readlane_b32 s82, v3, 23                                 // 00000000ACA8: D2890052 00012F03
	s_lshr_b32 s61, s82, 24                                    // 00000000ACB0: 8F3D9852
	s_and_b32 s82, s82, 0xffffff                               // 00000000ACB4: 8652FF52 00FFFFFF
	s_mul_i32 s82, s82, s71                                    // 00000000ACBC: 92524752
	s_mul_i32 s61, s60, s61                                    // 00000000ACC0: 923D3D3C
	s_add_u32 s82, s82, s61                                    // 00000000ACC4: 80523D52
	v_mul_lo_u32 v7, v4, s82                                   // 00000000ACC8: D2850007 0000A504
	v_add_u32_e32 v63, v6, v7                                  // 00000000ACD0: 687E0F06
	v_and_b32_e32 v4, 31, v0                                   // 00000000ACD4: 2608009F
	v_lshrrev_b32_e32 v4, 1, v4                                // 00000000ACD8: 20080881
	s_cmp_eq_u32 s88, 0                                        // 00000000ACDC: BF068058
	s_cselect_b32 s61, 2, 4                                    // 00000000ACE0: 853D8482
	v_mul_lo_u32 v4, v4, s61                                   // 00000000ACE4: D2850004 00007B04
	v_and_b32_e64 v5, v0, 1                                    // 00000000ACEC: D1130005 00010300
	v_add_u32_e32 v4, v4, v5                                   // 00000000ACF4: 68080B04
	v_lshlrev_b32_e32 v4, 2, v4                                // 00000000ACF8: 24080882
	v_add_u32_e32 v52, v52, v4                                 // 00000000ACFC: 68680934
	v_add_u32_e32 v53, v53, v4                                 // 00000000AD00: 686A0935
	v_add_u32_e32 v54, v54, v4                                 // 00000000AD04: 686C0936
	v_add_u32_e32 v55, v55, v4                                 // 00000000AD08: 686E0937
	v_add_u32_e32 v56, v56, v4                                 // 00000000AD0C: 68700938
	v_add_u32_e32 v57, v57, v4                                 // 00000000AD10: 68720939
	v_add_u32_e32 v58, v58, v4                                 // 00000000AD14: 6874093A
	v_add_u32_e32 v59, v59, v4                                 // 00000000AD18: 6876093B
	v_add_u32_e32 v60, v60, v4                                 // 00000000AD1C: 6878093C
	v_add_u32_e32 v61, v61, v4                                 // 00000000AD20: 687A093D
	v_add_u32_e32 v62, v62, v4                                 // 00000000AD24: 687C093E
	v_add_u32_e32 v63, v63, v4                                 // 00000000AD28: 687E093F
	s_waitcnt lgkmcnt(0)                                       // 00000000AD2C: BF8CC07F
	s_barrier                                                  // 00000000AD30: BF8A0000
	ds_read_b32 v68, v21                                       // 00000000AD34: D86C0000 44000015
	ds_read_b32 v69, v21 offset:64                             // 00000000AD3C: D86C0040 45000015
	ds_read_b32 v70, v21 offset:2176                           // 00000000AD44: D86C0880 46000015
	ds_read_b32 v71, v21 offset:2240                           // 00000000AD4C: D86C08C0 47000015
	ds_read_b32 v72, v21 offset:4352                           // 00000000AD54: D86C1100 48000015
	ds_read_b32 v73, v21 offset:4416                           // 00000000AD5C: D86C1140 49000015
	ds_read_b32 v74, v21 offset:6528                           // 00000000AD64: D86C1980 4A000015
	ds_read_b32 v75, v21 offset:6592                           // 00000000AD6C: D86C19C0 4B000015
	ds_read_b32 v76, v21 offset:8704                           // 00000000AD74: D86C2200 4C000015
	ds_read_b32 v77, v21 offset:8768                           // 00000000AD7C: D86C2240 4D000015
	ds_read_b32 v78, v21 offset:10880                          // 00000000AD84: D86C2A80 4E000015
	ds_read_b32 v79, v21 offset:10944                          // 00000000AD8C: D86C2AC0 4F000015
	s_waitcnt lgkmcnt(0)                                       // 00000000AD94: BF8CC07F
	s_mov_b32 s36, -1                                          // 00000000AD98: BEA400C1
	s_mov_b32 s37, -1                                          // 00000000AD9C: BEA500C1
	v_mov_b32_e32 v7, 0                                        // 00000000ADA0: 7E0E0280
	s_or_b32 s9, s9, 0x40000                                   // 00000000ADA4: 8709FF09 00040000
	s_mov_b64 exec, s[36:37]                                   // 00000000ADAC: BEFE0124
	v_mov_b32_e32 v6, v52                                      // 00000000ADB0: 7E0C0334
	s_mov_b64 s[60:61], 0                                      // 00000000ADB4: BEBC0180
	v_readlane_b32 s82, v3, 0                                  // 00000000ADB8: D2890052 00010103
	s_and_b32 s82, s82, 0xffffff                               // 00000000ADC0: 8652FF52 00FFFFFF
	s_cmp_lt_u32 s82, s66                                      // 00000000ADC8: BF0A4252
	s_cselect_b32 s20, s36, s60                                // 00000000ADCC: 85143C24
	v_readlane_b32 s82, v3, 1                                  // 00000000ADD0: D2890052 00010303
	s_and_b32 s82, s82, 0xffffff                               // 00000000ADD8: 8652FF52 00FFFFFF
	s_cmp_lt_u32 s82, s66                                      // 00000000ADE0: BF0A4252
	s_cselect_b32 s21, s36, s60                                // 00000000ADE4: 85153C24
	s_mov_b64 exec, s[20:21]                                   // 00000000ADE8: BEFE0114
	buffer_store_dword v68, v6, s[8:11], 0 offen               // 00000000ADEC: E0701000 80024406
	s_mov_b64 exec, s[36:37]                                   // 00000000ADF4: BEFE0124
	v_mov_b32_e32 v6, v53                                      // 00000000ADF8: 7E0C0335
	s_mov_b64 s[60:61], 0                                      // 00000000ADFC: BEBC0180
	v_readlane_b32 s82, v3, 2                                  // 00000000AE00: D2890052 00010503
	s_and_b32 s82, s82, 0xffffff                               // 00000000AE08: 8652FF52 00FFFFFF
	s_cmp_lt_u32 s82, s66                                      // 00000000AE10: BF0A4252
	s_cselect_b32 s20, s36, s60                                // 00000000AE14: 85143C24
	v_readlane_b32 s82, v3, 3                                  // 00000000AE18: D2890052 00010703
	s_and_b32 s82, s82, 0xffffff                               // 00000000AE20: 8652FF52 00FFFFFF
	s_cmp_lt_u32 s82, s66                                      // 00000000AE28: BF0A4252
	s_cselect_b32 s21, s36, s60                                // 00000000AE2C: 85153C24
	s_mov_b64 exec, s[20:21]                                   // 00000000AE30: BEFE0114
	buffer_store_dword v69, v6, s[8:11], 0 offen               // 00000000AE34: E0701000 80024506
	s_mov_b64 exec, s[36:37]                                   // 00000000AE3C: BEFE0124
	v_mov_b32_e32 v6, v54                                      // 00000000AE40: 7E0C0336
	s_mov_b64 s[60:61], 0                                      // 00000000AE44: BEBC0180
	v_readlane_b32 s82, v3, 4                                  // 00000000AE48: D2890052 00010903
	s_and_b32 s82, s82, 0xffffff                               // 00000000AE50: 8652FF52 00FFFFFF
	s_cmp_lt_u32 s82, s66                                      // 00000000AE58: BF0A4252
	s_cselect_b32 s20, s36, s60                                // 00000000AE5C: 85143C24
	v_readlane_b32 s82, v3, 5                                  // 00000000AE60: D2890052 00010B03
	s_and_b32 s82, s82, 0xffffff                               // 00000000AE68: 8652FF52 00FFFFFF
	s_cmp_lt_u32 s82, s66                                      // 00000000AE70: BF0A4252
	s_cselect_b32 s21, s36, s60                                // 00000000AE74: 85153C24
	s_mov_b64 exec, s[20:21]                                   // 00000000AE78: BEFE0114
	buffer_store_dword v70, v6, s[8:11], 0 offen               // 00000000AE7C: E0701000 80024606
	s_mov_b64 exec, s[36:37]                                   // 00000000AE84: BEFE0124
	v_mov_b32_e32 v6, v55                                      // 00000000AE88: 7E0C0337
	s_mov_b64 s[60:61], 0                                      // 00000000AE8C: BEBC0180
	v_readlane_b32 s82, v3, 6                                  // 00000000AE90: D2890052 00010D03
	s_and_b32 s82, s82, 0xffffff                               // 00000000AE98: 8652FF52 00FFFFFF
	s_cmp_lt_u32 s82, s66                                      // 00000000AEA0: BF0A4252
	s_cselect_b32 s20, s36, s60                                // 00000000AEA4: 85143C24
	v_readlane_b32 s82, v3, 7                                  // 00000000AEA8: D2890052 00010F03
	s_and_b32 s82, s82, 0xffffff                               // 00000000AEB0: 8652FF52 00FFFFFF
	s_cmp_lt_u32 s82, s66                                      // 00000000AEB8: BF0A4252
	s_cselect_b32 s21, s36, s60                                // 00000000AEBC: 85153C24
	s_mov_b64 exec, s[20:21]                                   // 00000000AEC0: BEFE0114
	buffer_store_dword v71, v6, s[8:11], 0 offen               // 00000000AEC4: E0701000 80024706
	s_mov_b64 exec, s[36:37]                                   // 00000000AECC: BEFE0124
	v_mov_b32_e32 v6, v56                                      // 00000000AED0: 7E0C0338
	s_mov_b64 s[60:61], 0                                      // 00000000AED4: BEBC0180
	v_readlane_b32 s82, v3, 8                                  // 00000000AED8: D2890052 00011103
	s_and_b32 s82, s82, 0xffffff                               // 00000000AEE0: 8652FF52 00FFFFFF
	s_cmp_lt_u32 s82, s66                                      // 00000000AEE8: BF0A4252
	s_cselect_b32 s20, s36, s60                                // 00000000AEEC: 85143C24
	v_readlane_b32 s82, v3, 9                                  // 00000000AEF0: D2890052 00011303
	s_and_b32 s82, s82, 0xffffff                               // 00000000AEF8: 8652FF52 00FFFFFF
	s_cmp_lt_u32 s82, s66                                      // 00000000AF00: BF0A4252
	s_cselect_b32 s21, s36, s60                                // 00000000AF04: 85153C24
	s_mov_b64 exec, s[20:21]                                   // 00000000AF08: BEFE0114
	buffer_store_dword v72, v6, s[8:11], 0 offen               // 00000000AF0C: E0701000 80024806
	s_mov_b64 exec, s[36:37]                                   // 00000000AF14: BEFE0124
	v_mov_b32_e32 v6, v57                                      // 00000000AF18: 7E0C0339
	s_mov_b64 s[60:61], 0                                      // 00000000AF1C: BEBC0180
	v_readlane_b32 s82, v3, 10                                 // 00000000AF20: D2890052 00011503
	s_and_b32 s82, s82, 0xffffff                               // 00000000AF28: 8652FF52 00FFFFFF
	s_cmp_lt_u32 s82, s66                                      // 00000000AF30: BF0A4252
	s_cselect_b32 s20, s36, s60                                // 00000000AF34: 85143C24
	v_readlane_b32 s82, v3, 11                                 // 00000000AF38: D2890052 00011703
	s_and_b32 s82, s82, 0xffffff                               // 00000000AF40: 8652FF52 00FFFFFF
	s_cmp_lt_u32 s82, s66                                      // 00000000AF48: BF0A4252
	s_cselect_b32 s21, s36, s60                                // 00000000AF4C: 85153C24
	s_mov_b64 exec, s[20:21]                                   // 00000000AF50: BEFE0114
	buffer_store_dword v73, v6, s[8:11], 0 offen               // 00000000AF54: E0701000 80024906
	s_mov_b64 exec, s[36:37]                                   // 00000000AF5C: BEFE0124
	v_mov_b32_e32 v6, v58                                      // 00000000AF60: 7E0C033A
	s_mov_b64 s[60:61], 0                                      // 00000000AF64: BEBC0180
	v_readlane_b32 s82, v3, 12                                 // 00000000AF68: D2890052 00011903
	s_and_b32 s82, s82, 0xffffff                               // 00000000AF70: 8652FF52 00FFFFFF
	s_cmp_lt_u32 s82, s66                                      // 00000000AF78: BF0A4252
	s_cselect_b32 s20, s36, s60                                // 00000000AF7C: 85143C24
	v_readlane_b32 s82, v3, 13                                 // 00000000AF80: D2890052 00011B03
	s_and_b32 s82, s82, 0xffffff                               // 00000000AF88: 8652FF52 00FFFFFF
	s_cmp_lt_u32 s82, s66                                      // 00000000AF90: BF0A4252
	s_cselect_b32 s21, s36, s60                                // 00000000AF94: 85153C24
	s_mov_b64 exec, s[20:21]                                   // 00000000AF98: BEFE0114
	buffer_store_dword v74, v6, s[8:11], 0 offen               // 00000000AF9C: E0701000 80024A06
	s_mov_b64 exec, s[36:37]                                   // 00000000AFA4: BEFE0124
	v_mov_b32_e32 v6, v59                                      // 00000000AFA8: 7E0C033B
	s_mov_b64 s[60:61], 0                                      // 00000000AFAC: BEBC0180
	v_readlane_b32 s82, v3, 14                                 // 00000000AFB0: D2890052 00011D03
	s_and_b32 s82, s82, 0xffffff                               // 00000000AFB8: 8652FF52 00FFFFFF
	s_cmp_lt_u32 s82, s66                                      // 00000000AFC0: BF0A4252
	s_cselect_b32 s20, s36, s60                                // 00000000AFC4: 85143C24
	v_readlane_b32 s82, v3, 15                                 // 00000000AFC8: D2890052 00011F03
	s_and_b32 s82, s82, 0xffffff                               // 00000000AFD0: 8652FF52 00FFFFFF
	s_cmp_lt_u32 s82, s66                                      // 00000000AFD8: BF0A4252
	s_cselect_b32 s21, s36, s60                                // 00000000AFDC: 85153C24
	s_mov_b64 exec, s[20:21]                                   // 00000000AFE0: BEFE0114
	buffer_store_dword v75, v6, s[8:11], 0 offen               // 00000000AFE4: E0701000 80024B06
	s_mov_b64 exec, s[36:37]                                   // 00000000AFEC: BEFE0124
	v_mov_b32_e32 v6, v60                                      // 00000000AFF0: 7E0C033C
	s_mov_b64 s[60:61], 0                                      // 00000000AFF4: BEBC0180
	v_readlane_b32 s82, v3, 16                                 // 00000000AFF8: D2890052 00012103
	s_and_b32 s82, s82, 0xffffff                               // 00000000B000: 8652FF52 00FFFFFF
	s_cmp_lt_u32 s82, s66                                      // 00000000B008: BF0A4252
	s_cselect_b32 s20, s36, s60                                // 00000000B00C: 85143C24
	v_readlane_b32 s82, v3, 17                                 // 00000000B010: D2890052 00012303
	s_and_b32 s82, s82, 0xffffff                               // 00000000B018: 8652FF52 00FFFFFF
	s_cmp_lt_u32 s82, s66                                      // 00000000B020: BF0A4252
	s_cselect_b32 s21, s36, s60                                // 00000000B024: 85153C24
	s_mov_b64 exec, s[20:21]                                   // 00000000B028: BEFE0114
	buffer_store_dword v76, v6, s[8:11], 0 offen               // 00000000B02C: E0701000 80024C06
	s_mov_b64 exec, s[36:37]                                   // 00000000B034: BEFE0124
	v_mov_b32_e32 v6, v61                                      // 00000000B038: 7E0C033D
	s_mov_b64 s[60:61], 0                                      // 00000000B03C: BEBC0180
	v_readlane_b32 s82, v3, 18                                 // 00000000B040: D2890052 00012503
	s_and_b32 s82, s82, 0xffffff                               // 00000000B048: 8652FF52 00FFFFFF
	s_cmp_lt_u32 s82, s66                                      // 00000000B050: BF0A4252
	s_cselect_b32 s20, s36, s60                                // 00000000B054: 85143C24
	v_readlane_b32 s82, v3, 19                                 // 00000000B058: D2890052 00012703
	s_and_b32 s82, s82, 0xffffff                               // 00000000B060: 8652FF52 00FFFFFF
	s_cmp_lt_u32 s82, s66                                      // 00000000B068: BF0A4252
	s_cselect_b32 s21, s36, s60                                // 00000000B06C: 85153C24
	s_mov_b64 exec, s[20:21]                                   // 00000000B070: BEFE0114
	buffer_store_dword v77, v6, s[8:11], 0 offen               // 00000000B074: E0701000 80024D06
	s_mov_b64 exec, s[36:37]                                   // 00000000B07C: BEFE0124
	v_mov_b32_e32 v6, v62                                      // 00000000B080: 7E0C033E
	s_mov_b64 s[60:61], 0                                      // 00000000B084: BEBC0180
	v_readlane_b32 s82, v3, 20                                 // 00000000B088: D2890052 00012903
	s_and_b32 s82, s82, 0xffffff                               // 00000000B090: 8652FF52 00FFFFFF
	s_cmp_lt_u32 s82, s66                                      // 00000000B098: BF0A4252
	s_cselect_b32 s20, s36, s60                                // 00000000B09C: 85143C24
	v_readlane_b32 s82, v3, 21                                 // 00000000B0A0: D2890052 00012B03
	s_and_b32 s82, s82, 0xffffff                               // 00000000B0A8: 8652FF52 00FFFFFF
	s_cmp_lt_u32 s82, s66                                      // 00000000B0B0: BF0A4252
	s_cselect_b32 s21, s36, s60                                // 00000000B0B4: 85153C24
	s_mov_b64 exec, s[20:21]                                   // 00000000B0B8: BEFE0114
	buffer_store_dword v78, v6, s[8:11], 0 offen               // 00000000B0BC: E0701000 80024E06
	s_mov_b64 exec, s[36:37]                                   // 00000000B0C4: BEFE0124
	v_mov_b32_e32 v6, v63                                      // 00000000B0C8: 7E0C033F
	s_mov_b64 s[60:61], 0                                      // 00000000B0CC: BEBC0180
	v_readlane_b32 s82, v3, 22                                 // 00000000B0D0: D2890052 00012D03
	s_and_b32 s82, s82, 0xffffff                               // 00000000B0D8: 8652FF52 00FFFFFF
	s_cmp_lt_u32 s82, s66                                      // 00000000B0E0: BF0A4252
	s_cselect_b32 s20, s36, s60                                // 00000000B0E4: 85143C24
	v_readlane_b32 s82, v3, 23                                 // 00000000B0E8: D2890052 00012F03
	s_and_b32 s82, s82, 0xffffff                               // 00000000B0F0: 8652FF52 00FFFFFF
	s_cmp_lt_u32 s82, s66                                      // 00000000B0F8: BF0A4252
	s_cselect_b32 s21, s36, s60                                // 00000000B0FC: 85153C24
	s_mov_b64 exec, s[20:21]                                   // 00000000B100: BEFE0114
	buffer_store_dword v79, v6, s[8:11], 0 offen               // 00000000B104: E0701000 80024F06
	s_mov_b64 exec, s[36:37]                                   // 00000000B10C: BEFE0124
	s_cmp_eq_u32 s7, 0                                         // 00000000B110: BF068007
	s_cbranch_scc0 label_282C                                  // 00000000B114: BF840663
	s_waitcnt vmcnt(12)                                        // 00000000B118: BF8C0F7C
	s_mov_b32 s8, s90                                          // 00000000B11C: BE88005A
	s_mov_b32 s9, s91                                          // 00000000B120: BE89005B
	s_mul_i32 s60, s66, s71                                    // 00000000B124: 923C4742
	s_add_u32 s8, s60, s8                                      // 00000000B128: 8008083C
	s_addc_u32 s9, 0, s9                                       // 00000000B12C: 82090980
	s_lshr_b32 s71, s71, 5                                     // 00000000B130: 8F478547
	s_mul_i32 s60, s66, s71                                    // 00000000B134: 923C4742
	s_mov_b32 s10, s60                                         // 00000000B138: BE8A003C
	s_lshr_b32 s61, s65, 5                                     // 00000000B13C: 8F3D8541
	s_mul_i32 s60, s2, 4                                       // 00000000B140: 923C8402
	v_lshrrev_b32_e32 v4, 24, v28                              // 00000000B144: 20083898
	v_mul_lo_u32 v4, s61, v4                                   // 00000000B148: D2850004 0002083D
	v_and_b32_e32 v28, 0xffffff, v28                           // 00000000B150: 263838FF 00FFFFFF
	v_mul_lo_u32 v28, s71, v28                                 // 00000000B158: D285001C 00023847
	v_add_u32_e32 v28, v4, v28                                 // 00000000B160: 68383904
	v_add_u32_e32 v28, s60, v28                                // 00000000B164: 6838383C
	v_lshrrev_b32_e32 v4, 24, v29                              // 00000000B168: 20083A98
	v_mul_lo_u32 v4, s61, v4                                   // 00000000B16C: D2850004 0002083D
	v_and_b32_e32 v29, 0xffffff, v29                           // 00000000B174: 263A3AFF 00FFFFFF
	v_mul_lo_u32 v29, s71, v29                                 // 00000000B17C: D285001D 00023A47
	v_add_u32_e32 v29, v4, v29                                 // 00000000B184: 683A3B04
	v_add_u32_e32 v29, s60, v29                                // 00000000B188: 683A3A3C
	v_lshrrev_b32_e32 v4, 24, v30                              // 00000000B18C: 20083C98
	v_mul_lo_u32 v4, s61, v4                                   // 00000000B190: D2850004 0002083D
	v_and_b32_e32 v30, 0xffffff, v30                           // 00000000B198: 263C3CFF 00FFFFFF
	v_mul_lo_u32 v30, s71, v30                                 // 00000000B1A0: D285001E 00023C47
	v_add_u32_e32 v30, v4, v30                                 // 00000000B1A8: 683C3D04
	v_add_u32_e32 v30, s60, v30                                // 00000000B1AC: 683C3C3C
	v_lshrrev_b32_e32 v4, 24, v31                              // 00000000B1B0: 20083E98
	v_mul_lo_u32 v4, s61, v4                                   // 00000000B1B4: D2850004 0002083D
	v_and_b32_e32 v31, 0xffffff, v31                           // 00000000B1BC: 263E3EFF 00FFFFFF
	v_mul_lo_u32 v31, s71, v31                                 // 00000000B1C4: D285001F 00023E47
	v_add_u32_e32 v31, v4, v31                                 // 00000000B1CC: 683E3F04
	v_add_u32_e32 v31, s60, v31                                // 00000000B1D0: 683E3E3C
	v_lshrrev_b32_e32 v4, 24, v32                              // 00000000B1D4: 20084098
	v_mul_lo_u32 v4, s61, v4                                   // 00000000B1D8: D2850004 0002083D
	v_and_b32_e32 v32, 0xffffff, v32                           // 00000000B1E0: 264040FF 00FFFFFF
	v_mul_lo_u32 v32, s71, v32                                 // 00000000B1E8: D2850020 00024047
	v_add_u32_e32 v32, v4, v32                                 // 00000000B1F0: 68404104
	v_add_u32_e32 v32, s60, v32                                // 00000000B1F4: 6840403C
	v_lshrrev_b32_e32 v4, 24, v33                              // 00000000B1F8: 20084298
	v_mul_lo_u32 v4, s61, v4                                   // 00000000B1FC: D2850004 0002083D
	v_and_b32_e32 v33, 0xffffff, v33                           // 00000000B204: 264242FF 00FFFFFF
	v_mul_lo_u32 v33, s71, v33                                 // 00000000B20C: D2850021 00024247
	v_add_u32_e32 v33, v4, v33                                 // 00000000B214: 68424304
	v_add_u32_e32 v33, s60, v33                                // 00000000B218: 6842423C
	s_mov_b64 exec, 0xffff                                     // 00000000B21C: BEFE01FF 0000FFFF
	buffer_store_dword v116, v28, s[8:11], 0 offen             // 00000000B224: E0701000 8002741C
	buffer_store_dword v117, v29, s[8:11], 0 offen             // 00000000B22C: E0701000 8002751D
	buffer_store_dword v118, v30, s[8:11], 0 offen             // 00000000B234: E0701000 8002761E
	buffer_store_dword v119, v31, s[8:11], 0 offen             // 00000000B23C: E0701000 8002771F
	buffer_store_dword v120, v32, s[8:11], 0 offen             // 00000000B244: E0701000 80027820
	buffer_store_dword v121, v33, s[8:11], 0 offen             // 00000000B24C: E0701000 80027921
	s_mov_b64 exec, s[36:37]                                   // 00000000B254: BEFE0124
	s_branch label_282C                                        // 00000000B258: BF820612

000000000000b25c <label_221A>:
	ds_write_b64 v20, v[68:69]                                 // 00000000B25C: D89A0000 00004414
	ds_write_b64 v20, v[72:73] offset:4352                     // 00000000B264: D89A1100 00004814
	ds_write_b64 v20, v[76:77] offset:8704                     // 00000000B26C: D89A2200 00004C14
	ds_write_b64 v20, v[80:81] offset:13056                    // 00000000B274: D89A3300 00005014
	ds_write_b64 v20, v[84:85] offset:17408                    // 00000000B27C: D89A4400 00005414
	ds_write_b64 v20, v[88:89] offset:21760                    // 00000000B284: D89A5500 00005814
	ds_write_b64 v20, v[92:93] offset:2176                     // 00000000B28C: D89A0880 00005C14
	ds_write_b64 v20, v[96:97] offset:6528                     // 00000000B294: D89A1980 00006014
	ds_write_b64 v20, v[100:101] offset:10880                  // 00000000B29C: D89A2A80 00006414
	ds_write_b64 v20, v[104:105] offset:15232                  // 00000000B2A4: D89A3B80 00006814
	ds_write_b64 v20, v[108:109] offset:19584                  // 00000000B2AC: D89A4C80 00006C14
	ds_write_b64 v20, v[112:113] offset:23936                  // 00000000B2B4: D89A5D80 00007014
	v_lshrrev_b32_e32 v4, 5, v0                                // 00000000B2BC: 20080085
	v_xor_b32_e32 v5, 1, v4                                    // 00000000B2C0: 2A0A0881
	s_mul_i32 s60, s65, 1                                      // 00000000B2C4: 923C8141
	s_cmp_eq_u32 s88, 0                                        // 00000000B2C8: BF068058
	s_cselect_b32 s61, 1, 8                                    // 00000000B2CC: 853D8881
	s_mul_i32 s60, s61, s60                                    // 00000000B2D0: 923C3C3D
	v_readlane_b32 s82, v3, 0                                  // 00000000B2D4: D2890052 00010103
	s_lshr_b32 s61, s82, 24                                    // 00000000B2DC: 8F3D9852
	s_and_b32 s82, s82, 0xffffff                               // 00000000B2E0: 8652FF52 00FFFFFF
	s_mul_i32 s82, s82, s71                                    // 00000000B2E8: 92524752
	s_mul_i32 s61, s60, s61                                    // 00000000B2EC: 923D3D3C
	s_add_u32 s82, s82, s61                                    // 00000000B2F0: 80523D52
	v_mul_lo_u32 v6, v5, s82                                   // 00000000B2F4: D2850006 0000A505
	v_readlane_b32 s82, v3, 1                                  // 00000000B2FC: D2890052 00010303
	s_lshr_b32 s61, s82, 24                                    // 00000000B304: 8F3D9852
	s_and_b32 s82, s82, 0xffffff                               // 00000000B308: 8652FF52 00FFFFFF
	s_mul_i32 s82, s82, s71                                    // 00000000B310: 92524752
	s_mul_i32 s61, s60, s61                                    // 00000000B314: 923D3D3C
	s_add_u32 s82, s82, s61                                    // 00000000B318: 80523D52
	v_mul_lo_u32 v7, v4, s82                                   // 00000000B31C: D2850007 0000A504
	v_add_u32_e32 v52, v6, v7                                  // 00000000B324: 68680F06
	v_readlane_b32 s82, v3, 2                                  // 00000000B328: D2890052 00010503
	s_lshr_b32 s61, s82, 24                                    // 00000000B330: 8F3D9852
	s_and_b32 s82, s82, 0xffffff                               // 00000000B334: 8652FF52 00FFFFFF
	s_mul_i32 s82, s82, s71                                    // 00000000B33C: 92524752
	s_mul_i32 s61, s60, s61                                    // 00000000B340: 923D3D3C
	s_add_u32 s82, s82, s61                                    // 00000000B344: 80523D52
	v_mul_lo_u32 v6, v5, s82                                   // 00000000B348: D2850006 0000A505
	v_readlane_b32 s82, v3, 3                                  // 00000000B350: D2890052 00010703
	s_lshr_b32 s61, s82, 24                                    // 00000000B358: 8F3D9852
	s_and_b32 s82, s82, 0xffffff                               // 00000000B35C: 8652FF52 00FFFFFF
	s_mul_i32 s82, s82, s71                                    // 00000000B364: 92524752
	s_mul_i32 s61, s60, s61                                    // 00000000B368: 923D3D3C
	s_add_u32 s82, s82, s61                                    // 00000000B36C: 80523D52
	v_mul_lo_u32 v7, v4, s82                                   // 00000000B370: D2850007 0000A504
	v_add_u32_e32 v53, v6, v7                                  // 00000000B378: 686A0F06
	v_readlane_b32 s82, v3, 4                                  // 00000000B37C: D2890052 00010903
	s_lshr_b32 s61, s82, 24                                    // 00000000B384: 8F3D9852
	s_and_b32 s82, s82, 0xffffff                               // 00000000B388: 8652FF52 00FFFFFF
	s_mul_i32 s82, s82, s71                                    // 00000000B390: 92524752
	s_mul_i32 s61, s60, s61                                    // 00000000B394: 923D3D3C
	s_add_u32 s82, s82, s61                                    // 00000000B398: 80523D52
	v_mul_lo_u32 v6, v5, s82                                   // 00000000B39C: D2850006 0000A505
	v_readlane_b32 s82, v3, 5                                  // 00000000B3A4: D2890052 00010B03
	s_lshr_b32 s61, s82, 24                                    // 00000000B3AC: 8F3D9852
	s_and_b32 s82, s82, 0xffffff                               // 00000000B3B0: 8652FF52 00FFFFFF
	s_mul_i32 s82, s82, s71                                    // 00000000B3B8: 92524752
	s_mul_i32 s61, s60, s61                                    // 00000000B3BC: 923D3D3C
	s_add_u32 s82, s82, s61                                    // 00000000B3C0: 80523D52
	v_mul_lo_u32 v7, v4, s82                                   // 00000000B3C4: D2850007 0000A504
	v_add_u32_e32 v54, v6, v7                                  // 00000000B3CC: 686C0F06
	v_readlane_b32 s82, v3, 6                                  // 00000000B3D0: D2890052 00010D03
	s_lshr_b32 s61, s82, 24                                    // 00000000B3D8: 8F3D9852
	s_and_b32 s82, s82, 0xffffff                               // 00000000B3DC: 8652FF52 00FFFFFF
	s_mul_i32 s82, s82, s71                                    // 00000000B3E4: 92524752
	s_mul_i32 s61, s60, s61                                    // 00000000B3E8: 923D3D3C
	s_add_u32 s82, s82, s61                                    // 00000000B3EC: 80523D52
	v_mul_lo_u32 v6, v5, s82                                   // 00000000B3F0: D2850006 0000A505
	v_readlane_b32 s82, v3, 7                                  // 00000000B3F8: D2890052 00010F03
	s_lshr_b32 s61, s82, 24                                    // 00000000B400: 8F3D9852
	s_and_b32 s82, s82, 0xffffff                               // 00000000B404: 8652FF52 00FFFFFF
	s_mul_i32 s82, s82, s71                                    // 00000000B40C: 92524752
	s_mul_i32 s61, s60, s61                                    // 00000000B410: 923D3D3C
	s_add_u32 s82, s82, s61                                    // 00000000B414: 80523D52
	v_mul_lo_u32 v7, v4, s82                                   // 00000000B418: D2850007 0000A504
	v_add_u32_e32 v55, v6, v7                                  // 00000000B420: 686E0F06
	v_readlane_b32 s82, v3, 8                                  // 00000000B424: D2890052 00011103
	s_lshr_b32 s61, s82, 24                                    // 00000000B42C: 8F3D9852
	s_and_b32 s82, s82, 0xffffff                               // 00000000B430: 8652FF52 00FFFFFF
	s_mul_i32 s82, s82, s71                                    // 00000000B438: 92524752
	s_mul_i32 s61, s60, s61                                    // 00000000B43C: 923D3D3C
	s_add_u32 s82, s82, s61                                    // 00000000B440: 80523D52
	v_mul_lo_u32 v6, v5, s82                                   // 00000000B444: D2850006 0000A505
	v_readlane_b32 s82, v3, 9                                  // 00000000B44C: D2890052 00011303
	s_lshr_b32 s61, s82, 24                                    // 00000000B454: 8F3D9852
	s_and_b32 s82, s82, 0xffffff                               // 00000000B458: 8652FF52 00FFFFFF
	s_mul_i32 s82, s82, s71                                    // 00000000B460: 92524752
	s_mul_i32 s61, s60, s61                                    // 00000000B464: 923D3D3C
	s_add_u32 s82, s82, s61                                    // 00000000B468: 80523D52
	v_mul_lo_u32 v7, v4, s82                                   // 00000000B46C: D2850007 0000A504
	v_add_u32_e32 v56, v6, v7                                  // 00000000B474: 68700F06
	v_readlane_b32 s82, v3, 10                                 // 00000000B478: D2890052 00011503
	s_lshr_b32 s61, s82, 24                                    // 00000000B480: 8F3D9852
	s_and_b32 s82, s82, 0xffffff                               // 00000000B484: 8652FF52 00FFFFFF
	s_mul_i32 s82, s82, s71                                    // 00000000B48C: 92524752
	s_mul_i32 s61, s60, s61                                    // 00000000B490: 923D3D3C
	s_add_u32 s82, s82, s61                                    // 00000000B494: 80523D52
	v_mul_lo_u32 v6, v5, s82                                   // 00000000B498: D2850006 0000A505
	v_readlane_b32 s82, v3, 11                                 // 00000000B4A0: D2890052 00011703
	s_lshr_b32 s61, s82, 24                                    // 00000000B4A8: 8F3D9852
	s_and_b32 s82, s82, 0xffffff                               // 00000000B4AC: 8652FF52 00FFFFFF
	s_mul_i32 s82, s82, s71                                    // 00000000B4B4: 92524752
	s_mul_i32 s61, s60, s61                                    // 00000000B4B8: 923D3D3C
	s_add_u32 s82, s82, s61                                    // 00000000B4BC: 80523D52
	v_mul_lo_u32 v7, v4, s82                                   // 00000000B4C0: D2850007 0000A504
	v_add_u32_e32 v57, v6, v7                                  // 00000000B4C8: 68720F06
	v_readlane_b32 s82, v3, 12                                 // 00000000B4CC: D2890052 00011903
	s_lshr_b32 s61, s82, 24                                    // 00000000B4D4: 8F3D9852
	s_and_b32 s82, s82, 0xffffff                               // 00000000B4D8: 8652FF52 00FFFFFF
	s_mul_i32 s82, s82, s71                                    // 00000000B4E0: 92524752
	s_mul_i32 s61, s60, s61                                    // 00000000B4E4: 923D3D3C
	s_add_u32 s82, s82, s61                                    // 00000000B4E8: 80523D52
	v_mul_lo_u32 v6, v5, s82                                   // 00000000B4EC: D2850006 0000A505
	v_readlane_b32 s82, v3, 13                                 // 00000000B4F4: D2890052 00011B03
	s_lshr_b32 s61, s82, 24                                    // 00000000B4FC: 8F3D9852
	s_and_b32 s82, s82, 0xffffff                               // 00000000B500: 8652FF52 00FFFFFF
	s_mul_i32 s82, s82, s71                                    // 00000000B508: 92524752
	s_mul_i32 s61, s60, s61                                    // 00000000B50C: 923D3D3C
	s_add_u32 s82, s82, s61                                    // 00000000B510: 80523D52
	v_mul_lo_u32 v7, v4, s82                                   // 00000000B514: D2850007 0000A504
	v_add_u32_e32 v58, v6, v7                                  // 00000000B51C: 68740F06
	v_readlane_b32 s82, v3, 14                                 // 00000000B520: D2890052 00011D03
	s_lshr_b32 s61, s82, 24                                    // 00000000B528: 8F3D9852
	s_and_b32 s82, s82, 0xffffff                               // 00000000B52C: 8652FF52 00FFFFFF
	s_mul_i32 s82, s82, s71                                    // 00000000B534: 92524752
	s_mul_i32 s61, s60, s61                                    // 00000000B538: 923D3D3C
	s_add_u32 s82, s82, s61                                    // 00000000B53C: 80523D52
	v_mul_lo_u32 v6, v5, s82                                   // 00000000B540: D2850006 0000A505
	v_readlane_b32 s82, v3, 15                                 // 00000000B548: D2890052 00011F03
	s_lshr_b32 s61, s82, 24                                    // 00000000B550: 8F3D9852
	s_and_b32 s82, s82, 0xffffff                               // 00000000B554: 8652FF52 00FFFFFF
	s_mul_i32 s82, s82, s71                                    // 00000000B55C: 92524752
	s_mul_i32 s61, s60, s61                                    // 00000000B560: 923D3D3C
	s_add_u32 s82, s82, s61                                    // 00000000B564: 80523D52
	v_mul_lo_u32 v7, v4, s82                                   // 00000000B568: D2850007 0000A504
	v_add_u32_e32 v59, v6, v7                                  // 00000000B570: 68760F06
	v_readlane_b32 s82, v3, 16                                 // 00000000B574: D2890052 00012103
	s_lshr_b32 s61, s82, 24                                    // 00000000B57C: 8F3D9852
	s_and_b32 s82, s82, 0xffffff                               // 00000000B580: 8652FF52 00FFFFFF
	s_mul_i32 s82, s82, s71                                    // 00000000B588: 92524752
	s_mul_i32 s61, s60, s61                                    // 00000000B58C: 923D3D3C
	s_add_u32 s82, s82, s61                                    // 00000000B590: 80523D52
	v_mul_lo_u32 v6, v5, s82                                   // 00000000B594: D2850006 0000A505
	v_readlane_b32 s82, v3, 17                                 // 00000000B59C: D2890052 00012303
	s_lshr_b32 s61, s82, 24                                    // 00000000B5A4: 8F3D9852
	s_and_b32 s82, s82, 0xffffff                               // 00000000B5A8: 8652FF52 00FFFFFF
	s_mul_i32 s82, s82, s71                                    // 00000000B5B0: 92524752
	s_mul_i32 s61, s60, s61                                    // 00000000B5B4: 923D3D3C
	s_add_u32 s82, s82, s61                                    // 00000000B5B8: 80523D52
	v_mul_lo_u32 v7, v4, s82                                   // 00000000B5BC: D2850007 0000A504
	v_add_u32_e32 v60, v6, v7                                  // 00000000B5C4: 68780F06
	v_readlane_b32 s82, v3, 18                                 // 00000000B5C8: D2890052 00012503
	s_lshr_b32 s61, s82, 24                                    // 00000000B5D0: 8F3D9852
	s_and_b32 s82, s82, 0xffffff                               // 00000000B5D4: 8652FF52 00FFFFFF
	s_mul_i32 s82, s82, s71                                    // 00000000B5DC: 92524752
	s_mul_i32 s61, s60, s61                                    // 00000000B5E0: 923D3D3C
	s_add_u32 s82, s82, s61                                    // 00000000B5E4: 80523D52
	v_mul_lo_u32 v6, v5, s82                                   // 00000000B5E8: D2850006 0000A505
	v_readlane_b32 s82, v3, 19                                 // 00000000B5F0: D2890052 00012703
	s_lshr_b32 s61, s82, 24                                    // 00000000B5F8: 8F3D9852
	s_and_b32 s82, s82, 0xffffff                               // 00000000B5FC: 8652FF52 00FFFFFF
	s_mul_i32 s82, s82, s71                                    // 00000000B604: 92524752
	s_mul_i32 s61, s60, s61                                    // 00000000B608: 923D3D3C
	s_add_u32 s82, s82, s61                                    // 00000000B60C: 80523D52
	v_mul_lo_u32 v7, v4, s82                                   // 00000000B610: D2850007 0000A504
	v_add_u32_e32 v61, v6, v7                                  // 00000000B618: 687A0F06
	v_readlane_b32 s82, v3, 20                                 // 00000000B61C: D2890052 00012903
	s_lshr_b32 s61, s82, 24                                    // 00000000B624: 8F3D9852
	s_and_b32 s82, s82, 0xffffff                               // 00000000B628: 8652FF52 00FFFFFF
	s_mul_i32 s82, s82, s71                                    // 00000000B630: 92524752
	s_mul_i32 s61, s60, s61                                    // 00000000B634: 923D3D3C
	s_add_u32 s82, s82, s61                                    // 00000000B638: 80523D52
	v_mul_lo_u32 v6, v5, s82                                   // 00000000B63C: D2850006 0000A505
	v_readlane_b32 s82, v3, 21                                 // 00000000B644: D2890052 00012B03
	s_lshr_b32 s61, s82, 24                                    // 00000000B64C: 8F3D9852
	s_and_b32 s82, s82, 0xffffff                               // 00000000B650: 8652FF52 00FFFFFF
	s_mul_i32 s82, s82, s71                                    // 00000000B658: 92524752
	s_mul_i32 s61, s60, s61                                    // 00000000B65C: 923D3D3C
	s_add_u32 s82, s82, s61                                    // 00000000B660: 80523D52
	v_mul_lo_u32 v7, v4, s82                                   // 00000000B664: D2850007 0000A504
	v_add_u32_e32 v62, v6, v7                                  // 00000000B66C: 687C0F06
	v_readlane_b32 s82, v3, 22                                 // 00000000B670: D2890052 00012D03
	s_lshr_b32 s61, s82, 24                                    // 00000000B678: 8F3D9852
	s_and_b32 s82, s82, 0xffffff                               // 00000000B67C: 8652FF52 00FFFFFF
	s_mul_i32 s82, s82, s71                                    // 00000000B684: 92524752
	s_mul_i32 s61, s60, s61                                    // 00000000B688: 923D3D3C
	s_add_u32 s82, s82, s61                                    // 00000000B68C: 80523D52
	v_mul_lo_u32 v6, v5, s82                                   // 00000000B690: D2850006 0000A505
	v_readlane_b32 s82, v3, 23                                 // 00000000B698: D2890052 00012F03
	s_lshr_b32 s61, s82, 24                                    // 00000000B6A0: 8F3D9852
	s_and_b32 s82, s82, 0xffffff                               // 00000000B6A4: 8652FF52 00FFFFFF
	s_mul_i32 s82, s82, s71                                    // 00000000B6AC: 92524752
	s_mul_i32 s61, s60, s61                                    // 00000000B6B0: 923D3D3C
	s_add_u32 s82, s82, s61                                    // 00000000B6B4: 80523D52
	v_mul_lo_u32 v7, v4, s82                                   // 00000000B6B8: D2850007 0000A504
	v_add_u32_e32 v63, v6, v7                                  // 00000000B6C0: 687E0F06
	v_and_b32_e32 v4, 31, v0                                   // 00000000B6C4: 2608009F
	v_lshrrev_b32_e32 v4, 1, v4                                // 00000000B6C8: 20080881
	s_cmp_eq_u32 s88, 0                                        // 00000000B6CC: BF068058
	s_cselect_b32 s61, 2, 4                                    // 00000000B6D0: 853D8482
	v_mul_lo_u32 v4, v4, s61                                   // 00000000B6D4: D2850004 00007B04
	v_and_b32_e64 v5, v0, 1                                    // 00000000B6DC: D1130005 00010300
	v_add_u32_e32 v4, v4, v5                                   // 00000000B6E4: 68080B04
	v_lshlrev_b32_e32 v4, 2, v4                                // 00000000B6E8: 24080882
	v_add_u32_e32 v52, v52, v4                                 // 00000000B6EC: 68680934
	v_add_u32_e32 v53, v53, v4                                 // 00000000B6F0: 686A0935
	v_add_u32_e32 v54, v54, v4                                 // 00000000B6F4: 686C0936
	v_add_u32_e32 v55, v55, v4                                 // 00000000B6F8: 686E0937
	v_add_u32_e32 v56, v56, v4                                 // 00000000B6FC: 68700938
	v_add_u32_e32 v57, v57, v4                                 // 00000000B700: 68720939
	v_add_u32_e32 v58, v58, v4                                 // 00000000B704: 6874093A
	v_add_u32_e32 v59, v59, v4                                 // 00000000B708: 6876093B
	v_add_u32_e32 v60, v60, v4                                 // 00000000B70C: 6878093C
	v_add_u32_e32 v61, v61, v4                                 // 00000000B710: 687A093D
	v_add_u32_e32 v62, v62, v4                                 // 00000000B714: 687C093E
	v_add_u32_e32 v63, v63, v4                                 // 00000000B718: 687E093F
	s_waitcnt lgkmcnt(0)                                       // 00000000B71C: BF8CC07F
	s_barrier                                                  // 00000000B720: BF8A0000
	ds_read_b32 v68, v21                                       // 00000000B724: D86C0000 44000015
	ds_read_b32 v69, v21 offset:64                             // 00000000B72C: D86C0040 45000015
	ds_read_b32 v72, v21 offset:2176                           // 00000000B734: D86C0880 48000015
	ds_read_b32 v73, v21 offset:2240                           // 00000000B73C: D86C08C0 49000015
	ds_read_b32 v76, v21 offset:4352                           // 00000000B744: D86C1100 4C000015
	ds_read_b32 v77, v21 offset:4416                           // 00000000B74C: D86C1140 4D000015
	ds_read_b32 v80, v21 offset:6528                           // 00000000B754: D86C1980 50000015
	ds_read_b32 v81, v21 offset:6592                           // 00000000B75C: D86C19C0 51000015
	ds_read_b32 v84, v21 offset:8704                           // 00000000B764: D86C2200 54000015
	ds_read_b32 v85, v21 offset:8768                           // 00000000B76C: D86C2240 55000015
	ds_read_b32 v88, v21 offset:10880                          // 00000000B774: D86C2A80 58000015
	ds_read_b32 v89, v21 offset:10944                          // 00000000B77C: D86C2AC0 59000015
	ds_read_b32 v92, v21 offset:13056                          // 00000000B784: D86C3300 5C000015
	ds_read_b32 v93, v21 offset:13120                          // 00000000B78C: D86C3340 5D000015
	ds_read_b32 v96, v21 offset:15232                          // 00000000B794: D86C3B80 60000015
	ds_read_b32 v97, v21 offset:15296                          // 00000000B79C: D86C3BC0 61000015
	ds_read_b32 v100, v21 offset:17408                         // 00000000B7A4: D86C4400 64000015
	ds_read_b32 v101, v21 offset:17472                         // 00000000B7AC: D86C4440 65000015
	ds_read_b32 v104, v21 offset:19584                         // 00000000B7B4: D86C4C80 68000015
	ds_read_b32 v105, v21 offset:19648                         // 00000000B7BC: D86C4CC0 69000015
	ds_read_b32 v108, v21 offset:21760                         // 00000000B7C4: D86C5500 6C000015
	ds_read_b32 v109, v21 offset:21824                         // 00000000B7CC: D86C5540 6D000015
	ds_read_b32 v112, v21 offset:23936                         // 00000000B7D4: D86C5D80 70000015
	ds_read_b32 v113, v21 offset:24000                         // 00000000B7DC: D86C5DC0 71000015
	s_waitcnt lgkmcnt(0)                                       // 00000000B7E4: BF8CC07F
	s_mov_b32 s36, -1                                          // 00000000B7E8: BEA400C1
	s_mov_b32 s37, -1                                          // 00000000B7EC: BEA500C1
	v_mov_b32_e32 v7, 0                                        // 00000000B7F0: 7E0E0280
	s_mov_b64 exec, s[36:37]                                   // 00000000B7F4: BEFE0124
	v_mov_b32_e32 v6, v52                                      // 00000000B7F8: 7E0C0334
	s_mov_b64 s[60:61], 0                                      // 00000000B7FC: BEBC0180
	v_readlane_b32 s82, v3, 0                                  // 00000000B800: D2890052 00010103
	s_and_b32 s82, s82, 0xffffff                               // 00000000B808: 8652FF52 00FFFFFF
	s_cmp_lt_u32 s82, s66                                      // 00000000B810: BF0A4252
	s_cselect_b32 s20, s36, s60                                // 00000000B814: 85143C24
	v_readlane_b32 s82, v3, 1                                  // 00000000B818: D2890052 00010303
	s_and_b32 s82, s82, 0xffffff                               // 00000000B820: 8652FF52 00FFFFFF
	s_cmp_lt_u32 s82, s66                                      // 00000000B828: BF0A4252
	s_cselect_b32 s21, s36, s60                                // 00000000B82C: 85153C24
	s_mov_b64 exec, s[20:21]                                   // 00000000B830: BEFE0114
	global_atomic_add_f32 v6, v68, s[8:9]                      // 00000000B834: DD348000 00084406
	global_atomic_add_f32 v6, v72, s[8:9] offset:256           // 00000000B83C: DD348100 00084806
	s_mov_b64 exec, s[36:37]                                   // 00000000B844: BEFE0124
	v_mov_b32_e32 v6, v53                                      // 00000000B848: 7E0C0335
	s_mov_b64 s[60:61], 0                                      // 00000000B84C: BEBC0180
	v_readlane_b32 s82, v3, 2                                  // 00000000B850: D2890052 00010503
	s_and_b32 s82, s82, 0xffffff                               // 00000000B858: 8652FF52 00FFFFFF
	s_cmp_lt_u32 s82, s66                                      // 00000000B860: BF0A4252
	s_cselect_b32 s20, s36, s60                                // 00000000B864: 85143C24
	v_readlane_b32 s82, v3, 3                                  // 00000000B868: D2890052 00010703
	s_and_b32 s82, s82, 0xffffff                               // 00000000B870: 8652FF52 00FFFFFF
	s_cmp_lt_u32 s82, s66                                      // 00000000B878: BF0A4252
	s_cselect_b32 s21, s36, s60                                // 00000000B87C: 85153C24
	s_mov_b64 exec, s[20:21]                                   // 00000000B880: BEFE0114
	global_atomic_add_f32 v6, v69, s[8:9]                      // 00000000B884: DD348000 00084506
	global_atomic_add_f32 v6, v73, s[8:9] offset:256           // 00000000B88C: DD348100 00084906
	s_mov_b64 exec, s[36:37]                                   // 00000000B894: BEFE0124
	v_mov_b32_e32 v6, v54                                      // 00000000B898: 7E0C0336
	s_mov_b64 s[60:61], 0                                      // 00000000B89C: BEBC0180
	v_readlane_b32 s82, v3, 4                                  // 00000000B8A0: D2890052 00010903
	s_and_b32 s82, s82, 0xffffff                               // 00000000B8A8: 8652FF52 00FFFFFF
	s_cmp_lt_u32 s82, s66                                      // 00000000B8B0: BF0A4252
	s_cselect_b32 s20, s36, s60                                // 00000000B8B4: 85143C24
	v_readlane_b32 s82, v3, 5                                  // 00000000B8B8: D2890052 00010B03
	s_and_b32 s82, s82, 0xffffff                               // 00000000B8C0: 8652FF52 00FFFFFF
	s_cmp_lt_u32 s82, s66                                      // 00000000B8C8: BF0A4252
	s_cselect_b32 s21, s36, s60                                // 00000000B8CC: 85153C24
	s_mov_b64 exec, s[20:21]                                   // 00000000B8D0: BEFE0114
	global_atomic_add_f32 v6, v76, s[8:9]                      // 00000000B8D4: DD348000 00084C06
	global_atomic_add_f32 v6, v80, s[8:9] offset:256           // 00000000B8DC: DD348100 00085006
	s_mov_b64 exec, s[36:37]                                   // 00000000B8E4: BEFE0124
	v_mov_b32_e32 v6, v55                                      // 00000000B8E8: 7E0C0337
	s_mov_b64 s[60:61], 0                                      // 00000000B8EC: BEBC0180
	v_readlane_b32 s82, v3, 6                                  // 00000000B8F0: D2890052 00010D03
	s_and_b32 s82, s82, 0xffffff                               // 00000000B8F8: 8652FF52 00FFFFFF
	s_cmp_lt_u32 s82, s66                                      // 00000000B900: BF0A4252
	s_cselect_b32 s20, s36, s60                                // 00000000B904: 85143C24
	v_readlane_b32 s82, v3, 7                                  // 00000000B908: D2890052 00010F03
	s_and_b32 s82, s82, 0xffffff                               // 00000000B910: 8652FF52 00FFFFFF
	s_cmp_lt_u32 s82, s66                                      // 00000000B918: BF0A4252
	s_cselect_b32 s21, s36, s60                                // 00000000B91C: 85153C24
	s_mov_b64 exec, s[20:21]                                   // 00000000B920: BEFE0114
	global_atomic_add_f32 v6, v77, s[8:9]                      // 00000000B924: DD348000 00084D06
	global_atomic_add_f32 v6, v81, s[8:9] offset:256           // 00000000B92C: DD348100 00085106
	s_mov_b64 exec, s[36:37]                                   // 00000000B934: BEFE0124
	v_mov_b32_e32 v6, v56                                      // 00000000B938: 7E0C0338
	s_mov_b64 s[60:61], 0                                      // 00000000B93C: BEBC0180
	v_readlane_b32 s82, v3, 8                                  // 00000000B940: D2890052 00011103
	s_and_b32 s82, s82, 0xffffff                               // 00000000B948: 8652FF52 00FFFFFF
	s_cmp_lt_u32 s82, s66                                      // 00000000B950: BF0A4252
	s_cselect_b32 s20, s36, s60                                // 00000000B954: 85143C24
	v_readlane_b32 s82, v3, 9                                  // 00000000B958: D2890052 00011303
	s_and_b32 s82, s82, 0xffffff                               // 00000000B960: 8652FF52 00FFFFFF
	s_cmp_lt_u32 s82, s66                                      // 00000000B968: BF0A4252
	s_cselect_b32 s21, s36, s60                                // 00000000B96C: 85153C24
	s_mov_b64 exec, s[20:21]                                   // 00000000B970: BEFE0114
	global_atomic_add_f32 v6, v84, s[8:9]                      // 00000000B974: DD348000 00085406
	global_atomic_add_f32 v6, v88, s[8:9] offset:256           // 00000000B97C: DD348100 00085806
	s_mov_b64 exec, s[36:37]                                   // 00000000B984: BEFE0124
	v_mov_b32_e32 v6, v57                                      // 00000000B988: 7E0C0339
	s_mov_b64 s[60:61], 0                                      // 00000000B98C: BEBC0180
	v_readlane_b32 s82, v3, 10                                 // 00000000B990: D2890052 00011503
	s_and_b32 s82, s82, 0xffffff                               // 00000000B998: 8652FF52 00FFFFFF
	s_cmp_lt_u32 s82, s66                                      // 00000000B9A0: BF0A4252
	s_cselect_b32 s20, s36, s60                                // 00000000B9A4: 85143C24
	v_readlane_b32 s82, v3, 11                                 // 00000000B9A8: D2890052 00011703
	s_and_b32 s82, s82, 0xffffff                               // 00000000B9B0: 8652FF52 00FFFFFF
	s_cmp_lt_u32 s82, s66                                      // 00000000B9B8: BF0A4252
	s_cselect_b32 s21, s36, s60                                // 00000000B9BC: 85153C24
	s_mov_b64 exec, s[20:21]                                   // 00000000B9C0: BEFE0114
	global_atomic_add_f32 v6, v85, s[8:9]                      // 00000000B9C4: DD348000 00085506
	global_atomic_add_f32 v6, v89, s[8:9] offset:256           // 00000000B9CC: DD348100 00085906
	s_mov_b64 exec, s[36:37]                                   // 00000000B9D4: BEFE0124
	v_mov_b32_e32 v6, v58                                      // 00000000B9D8: 7E0C033A
	s_mov_b64 s[60:61], 0                                      // 00000000B9DC: BEBC0180
	v_readlane_b32 s82, v3, 12                                 // 00000000B9E0: D2890052 00011903
	s_and_b32 s82, s82, 0xffffff                               // 00000000B9E8: 8652FF52 00FFFFFF
	s_cmp_lt_u32 s82, s66                                      // 00000000B9F0: BF0A4252
	s_cselect_b32 s20, s36, s60                                // 00000000B9F4: 85143C24
	v_readlane_b32 s82, v3, 13                                 // 00000000B9F8: D2890052 00011B03
	s_and_b32 s82, s82, 0xffffff                               // 00000000BA00: 8652FF52 00FFFFFF
	s_cmp_lt_u32 s82, s66                                      // 00000000BA08: BF0A4252
	s_cselect_b32 s21, s36, s60                                // 00000000BA0C: 85153C24
	s_mov_b64 exec, s[20:21]                                   // 00000000BA10: BEFE0114
	global_atomic_add_f32 v6, v92, s[8:9]                      // 00000000BA14: DD348000 00085C06
	global_atomic_add_f32 v6, v96, s[8:9] offset:256           // 00000000BA1C: DD348100 00086006
	s_mov_b64 exec, s[36:37]                                   // 00000000BA24: BEFE0124
	v_mov_b32_e32 v6, v59                                      // 00000000BA28: 7E0C033B
	s_mov_b64 s[60:61], 0                                      // 00000000BA2C: BEBC0180
	v_readlane_b32 s82, v3, 14                                 // 00000000BA30: D2890052 00011D03
	s_and_b32 s82, s82, 0xffffff                               // 00000000BA38: 8652FF52 00FFFFFF
	s_cmp_lt_u32 s82, s66                                      // 00000000BA40: BF0A4252
	s_cselect_b32 s20, s36, s60                                // 00000000BA44: 85143C24
	v_readlane_b32 s82, v3, 15                                 // 00000000BA48: D2890052 00011F03
	s_and_b32 s82, s82, 0xffffff                               // 00000000BA50: 8652FF52 00FFFFFF
	s_cmp_lt_u32 s82, s66                                      // 00000000BA58: BF0A4252
	s_cselect_b32 s21, s36, s60                                // 00000000BA5C: 85153C24
	s_mov_b64 exec, s[20:21]                                   // 00000000BA60: BEFE0114
	global_atomic_add_f32 v6, v93, s[8:9]                      // 00000000BA64: DD348000 00085D06
	global_atomic_add_f32 v6, v97, s[8:9] offset:256           // 00000000BA6C: DD348100 00086106
	s_mov_b64 exec, s[36:37]                                   // 00000000BA74: BEFE0124
	v_mov_b32_e32 v6, v60                                      // 00000000BA78: 7E0C033C
	s_mov_b64 s[60:61], 0                                      // 00000000BA7C: BEBC0180
	v_readlane_b32 s82, v3, 16                                 // 00000000BA80: D2890052 00012103
	s_and_b32 s82, s82, 0xffffff                               // 00000000BA88: 8652FF52 00FFFFFF
	s_cmp_lt_u32 s82, s66                                      // 00000000BA90: BF0A4252
	s_cselect_b32 s20, s36, s60                                // 00000000BA94: 85143C24
	v_readlane_b32 s82, v3, 17                                 // 00000000BA98: D2890052 00012303
	s_and_b32 s82, s82, 0xffffff                               // 00000000BAA0: 8652FF52 00FFFFFF
	s_cmp_lt_u32 s82, s66                                      // 00000000BAA8: BF0A4252
	s_cselect_b32 s21, s36, s60                                // 00000000BAAC: 85153C24
	s_mov_b64 exec, s[20:21]                                   // 00000000BAB0: BEFE0114
	global_atomic_add_f32 v6, v100, s[8:9]                     // 00000000BAB4: DD348000 00086406
	global_atomic_add_f32 v6, v104, s[8:9] offset:256          // 00000000BABC: DD348100 00086806
	s_mov_b64 exec, s[36:37]                                   // 00000000BAC4: BEFE0124
	v_mov_b32_e32 v6, v61                                      // 00000000BAC8: 7E0C033D
	s_mov_b64 s[60:61], 0                                      // 00000000BACC: BEBC0180
	v_readlane_b32 s82, v3, 18                                 // 00000000BAD0: D2890052 00012503
	s_and_b32 s82, s82, 0xffffff                               // 00000000BAD8: 8652FF52 00FFFFFF
	s_cmp_lt_u32 s82, s66                                      // 00000000BAE0: BF0A4252
	s_cselect_b32 s20, s36, s60                                // 00000000BAE4: 85143C24
	v_readlane_b32 s82, v3, 19                                 // 00000000BAE8: D2890052 00012703
	s_and_b32 s82, s82, 0xffffff                               // 00000000BAF0: 8652FF52 00FFFFFF
	s_cmp_lt_u32 s82, s66                                      // 00000000BAF8: BF0A4252
	s_cselect_b32 s21, s36, s60                                // 00000000BAFC: 85153C24
	s_mov_b64 exec, s[20:21]                                   // 00000000BB00: BEFE0114
	global_atomic_add_f32 v6, v101, s[8:9]                     // 00000000BB04: DD348000 00086506
	global_atomic_add_f32 v6, v105, s[8:9] offset:256          // 00000000BB0C: DD348100 00086906
	s_mov_b64 exec, s[36:37]                                   // 00000000BB14: BEFE0124
	v_mov_b32_e32 v6, v62                                      // 00000000BB18: 7E0C033E
	s_mov_b64 s[60:61], 0                                      // 00000000BB1C: BEBC0180
	v_readlane_b32 s82, v3, 20                                 // 00000000BB20: D2890052 00012903
	s_and_b32 s82, s82, 0xffffff                               // 00000000BB28: 8652FF52 00FFFFFF
	s_cmp_lt_u32 s82, s66                                      // 00000000BB30: BF0A4252
	s_cselect_b32 s20, s36, s60                                // 00000000BB34: 85143C24
	v_readlane_b32 s82, v3, 21                                 // 00000000BB38: D2890052 00012B03
	s_and_b32 s82, s82, 0xffffff                               // 00000000BB40: 8652FF52 00FFFFFF
	s_cmp_lt_u32 s82, s66                                      // 00000000BB48: BF0A4252
	s_cselect_b32 s21, s36, s60                                // 00000000BB4C: 85153C24
	s_mov_b64 exec, s[20:21]                                   // 00000000BB50: BEFE0114
	global_atomic_add_f32 v6, v108, s[8:9]                     // 00000000BB54: DD348000 00086C06
	global_atomic_add_f32 v6, v112, s[8:9] offset:256          // 00000000BB5C: DD348100 00087006
	s_mov_b64 exec, s[36:37]                                   // 00000000BB64: BEFE0124
	v_mov_b32_e32 v6, v63                                      // 00000000BB68: 7E0C033F
	s_mov_b64 s[60:61], 0                                      // 00000000BB6C: BEBC0180
	v_readlane_b32 s82, v3, 22                                 // 00000000BB70: D2890052 00012D03
	s_and_b32 s82, s82, 0xffffff                               // 00000000BB78: 8652FF52 00FFFFFF
	s_cmp_lt_u32 s82, s66                                      // 00000000BB80: BF0A4252
	s_cselect_b32 s20, s36, s60                                // 00000000BB84: 85143C24
	v_readlane_b32 s82, v3, 23                                 // 00000000BB88: D2890052 00012F03
	s_and_b32 s82, s82, 0xffffff                               // 00000000BB90: 8652FF52 00FFFFFF
	s_cmp_lt_u32 s82, s66                                      // 00000000BB98: BF0A4252
	s_cselect_b32 s21, s36, s60                                // 00000000BB9C: 85153C24
	s_mov_b64 exec, s[20:21]                                   // 00000000BBA0: BEFE0114
	global_atomic_add_f32 v6, v109, s[8:9]                     // 00000000BBA4: DD348000 00086D06
	global_atomic_add_f32 v6, v113, s[8:9] offset:256          // 00000000BBAC: DD348100 00087106
	s_mov_b64 exec, s[36:37]                                   // 00000000BBB4: BEFE0124
	ds_write_b64 v20, v[70:71]                                 // 00000000BBB8: D89A0000 00004614
	ds_write_b64 v20, v[74:75] offset:4352                     // 00000000BBC0: D89A1100 00004A14
	ds_write_b64 v20, v[78:79] offset:8704                     // 00000000BBC8: D89A2200 00004E14
	ds_write_b64 v20, v[82:83] offset:13056                    // 00000000BBD0: D89A3300 00005214
	ds_write_b64 v20, v[86:87] offset:17408                    // 00000000BBD8: D89A4400 00005614
	ds_write_b64 v20, v[90:91] offset:21760                    // 00000000BBE0: D89A5500 00005A14
	ds_write_b64 v20, v[94:95] offset:2176                     // 00000000BBE8: D89A0880 00005E14
	ds_write_b64 v20, v[98:99] offset:6528                     // 00000000BBF0: D89A1980 00006214
	ds_write_b64 v20, v[102:103] offset:10880                  // 00000000BBF8: D89A2A80 00006614
	ds_write_b64 v20, v[106:107] offset:15232                  // 00000000BC00: D89A3B80 00006A14
	ds_write_b64 v20, v[110:111] offset:19584                  // 00000000BC08: D89A4C80 00006E14
	ds_write_b64 v20, v[114:115] offset:23936                  // 00000000BC10: D89A5D80 00007214
	s_waitcnt lgkmcnt(0)                                       // 00000000BC18: BF8CC07F
	s_barrier                                                  // 00000000BC1C: BF8A0000
	ds_read_b32 v70, v21                                       // 00000000BC20: D86C0000 46000015
	ds_read_b32 v71, v21 offset:64                             // 00000000BC28: D86C0040 47000015
	ds_read_b32 v74, v21 offset:2176                           // 00000000BC30: D86C0880 4A000015
	ds_read_b32 v75, v21 offset:2240                           // 00000000BC38: D86C08C0 4B000015
	ds_read_b32 v78, v21 offset:4352                           // 00000000BC40: D86C1100 4E000015
	ds_read_b32 v79, v21 offset:4416                           // 00000000BC48: D86C1140 4F000015
	ds_read_b32 v82, v21 offset:6528                           // 00000000BC50: D86C1980 52000015
	ds_read_b32 v83, v21 offset:6592                           // 00000000BC58: D86C19C0 53000015
	ds_read_b32 v86, v21 offset:8704                           // 00000000BC60: D86C2200 56000015
	ds_read_b32 v87, v21 offset:8768                           // 00000000BC68: D86C2240 57000015
	ds_read_b32 v90, v21 offset:10880                          // 00000000BC70: D86C2A80 5A000015
	ds_read_b32 v91, v21 offset:10944                          // 00000000BC78: D86C2AC0 5B000015
	ds_read_b32 v94, v21 offset:13056                          // 00000000BC80: D86C3300 5E000015
	ds_read_b32 v95, v21 offset:13120                          // 00000000BC88: D86C3340 5F000015
	ds_read_b32 v98, v21 offset:15232                          // 00000000BC90: D86C3B80 62000015
	ds_read_b32 v99, v21 offset:15296                          // 00000000BC98: D86C3BC0 63000015
	ds_read_b32 v102, v21 offset:17408                         // 00000000BCA0: D86C4400 66000015
	ds_read_b32 v103, v21 offset:17472                         // 00000000BCA8: D86C4440 67000015
	ds_read_b32 v106, v21 offset:19584                         // 00000000BCB0: D86C4C80 6A000015
	ds_read_b32 v107, v21 offset:19648                         // 00000000BCB8: D86C4CC0 6B000015
	ds_read_b32 v110, v21 offset:21760                         // 00000000BCC0: D86C5500 6E000015
	ds_read_b32 v111, v21 offset:21824                         // 00000000BCC8: D86C5540 6F000015
	ds_read_b32 v114, v21 offset:23936                         // 00000000BCD0: D86C5D80 72000015
	ds_read_b32 v115, v21 offset:24000                         // 00000000BCD8: D86C5DC0 73000015
	s_waitcnt lgkmcnt(0)                                       // 00000000BCE0: BF8CC07F
	v_mov_b32_e32 v7, 0                                        // 00000000BCE4: 7E0E0280
	s_mov_b64 exec, s[36:37]                                   // 00000000BCE8: BEFE0124
	v_mov_b32_e32 v6, v52                                      // 00000000BCEC: 7E0C0334
	s_mov_b64 s[60:61], 0                                      // 00000000BCF0: BEBC0180
	v_readlane_b32 s82, v3, 0                                  // 00000000BCF4: D2890052 00010103
	s_and_b32 s82, s82, 0xffffff                               // 00000000BCFC: 8652FF52 00FFFFFF
	s_cmp_lt_u32 s82, s66                                      // 00000000BD04: BF0A4252
	s_cselect_b32 s20, s36, s60                                // 00000000BD08: 85143C24
	v_readlane_b32 s82, v3, 1                                  // 00000000BD0C: D2890052 00010303
	s_and_b32 s82, s82, 0xffffff                               // 00000000BD14: 8652FF52 00FFFFFF
	s_cmp_lt_u32 s82, s66                                      // 00000000BD1C: BF0A4252
	s_cselect_b32 s21, s36, s60                                // 00000000BD20: 85153C24
	s_mov_b64 exec, s[20:21]                                   // 00000000BD24: BEFE0114
	global_atomic_add_f32 v6, v70, s[8:9] offset:8             // 00000000BD28: DD348008 00084606
	global_atomic_add_f32 v6, v74, s[8:9] offset:264           // 00000000BD30: DD348108 00084A06
	s_mov_b64 exec, s[36:37]                                   // 00000000BD38: BEFE0124
	v_mov_b32_e32 v6, v53                                      // 00000000BD3C: 7E0C0335
	s_mov_b64 s[60:61], 0                                      // 00000000BD40: BEBC0180
	v_readlane_b32 s82, v3, 2                                  // 00000000BD44: D2890052 00010503
	s_and_b32 s82, s82, 0xffffff                               // 00000000BD4C: 8652FF52 00FFFFFF
	s_cmp_lt_u32 s82, s66                                      // 00000000BD54: BF0A4252
	s_cselect_b32 s20, s36, s60                                // 00000000BD58: 85143C24
	v_readlane_b32 s82, v3, 3                                  // 00000000BD5C: D2890052 00010703
	s_and_b32 s82, s82, 0xffffff                               // 00000000BD64: 8652FF52 00FFFFFF
	s_cmp_lt_u32 s82, s66                                      // 00000000BD6C: BF0A4252
	s_cselect_b32 s21, s36, s60                                // 00000000BD70: 85153C24
	s_mov_b64 exec, s[20:21]                                   // 00000000BD74: BEFE0114
	global_atomic_add_f32 v6, v71, s[8:9] offset:8             // 00000000BD78: DD348008 00084706
	global_atomic_add_f32 v6, v75, s[8:9] offset:264           // 00000000BD80: DD348108 00084B06
	s_mov_b64 exec, s[36:37]                                   // 00000000BD88: BEFE0124
	v_mov_b32_e32 v6, v54                                      // 00000000BD8C: 7E0C0336
	s_mov_b64 s[60:61], 0                                      // 00000000BD90: BEBC0180
	v_readlane_b32 s82, v3, 4                                  // 00000000BD94: D2890052 00010903
	s_and_b32 s82, s82, 0xffffff                               // 00000000BD9C: 8652FF52 00FFFFFF
	s_cmp_lt_u32 s82, s66                                      // 00000000BDA4: BF0A4252
	s_cselect_b32 s20, s36, s60                                // 00000000BDA8: 85143C24
	v_readlane_b32 s82, v3, 5                                  // 00000000BDAC: D2890052 00010B03
	s_and_b32 s82, s82, 0xffffff                               // 00000000BDB4: 8652FF52 00FFFFFF
	s_cmp_lt_u32 s82, s66                                      // 00000000BDBC: BF0A4252
	s_cselect_b32 s21, s36, s60                                // 00000000BDC0: 85153C24
	s_mov_b64 exec, s[20:21]                                   // 00000000BDC4: BEFE0114
	global_atomic_add_f32 v6, v78, s[8:9] offset:8             // 00000000BDC8: DD348008 00084E06
	global_atomic_add_f32 v6, v82, s[8:9] offset:264           // 00000000BDD0: DD348108 00085206
	s_mov_b64 exec, s[36:37]                                   // 00000000BDD8: BEFE0124
	v_mov_b32_e32 v6, v55                                      // 00000000BDDC: 7E0C0337
	s_mov_b64 s[60:61], 0                                      // 00000000BDE0: BEBC0180
	v_readlane_b32 s82, v3, 6                                  // 00000000BDE4: D2890052 00010D03
	s_and_b32 s82, s82, 0xffffff                               // 00000000BDEC: 8652FF52 00FFFFFF
	s_cmp_lt_u32 s82, s66                                      // 00000000BDF4: BF0A4252
	s_cselect_b32 s20, s36, s60                                // 00000000BDF8: 85143C24
	v_readlane_b32 s82, v3, 7                                  // 00000000BDFC: D2890052 00010F03
	s_and_b32 s82, s82, 0xffffff                               // 00000000BE04: 8652FF52 00FFFFFF
	s_cmp_lt_u32 s82, s66                                      // 00000000BE0C: BF0A4252
	s_cselect_b32 s21, s36, s60                                // 00000000BE10: 85153C24
	s_mov_b64 exec, s[20:21]                                   // 00000000BE14: BEFE0114
	global_atomic_add_f32 v6, v79, s[8:9] offset:8             // 00000000BE18: DD348008 00084F06
	global_atomic_add_f32 v6, v83, s[8:9] offset:264           // 00000000BE20: DD348108 00085306
	s_mov_b64 exec, s[36:37]                                   // 00000000BE28: BEFE0124
	v_mov_b32_e32 v6, v56                                      // 00000000BE2C: 7E0C0338
	s_mov_b64 s[60:61], 0                                      // 00000000BE30: BEBC0180
	v_readlane_b32 s82, v3, 8                                  // 00000000BE34: D2890052 00011103
	s_and_b32 s82, s82, 0xffffff                               // 00000000BE3C: 8652FF52 00FFFFFF
	s_cmp_lt_u32 s82, s66                                      // 00000000BE44: BF0A4252
	s_cselect_b32 s20, s36, s60                                // 00000000BE48: 85143C24
	v_readlane_b32 s82, v3, 9                                  // 00000000BE4C: D2890052 00011303
	s_and_b32 s82, s82, 0xffffff                               // 00000000BE54: 8652FF52 00FFFFFF
	s_cmp_lt_u32 s82, s66                                      // 00000000BE5C: BF0A4252
	s_cselect_b32 s21, s36, s60                                // 00000000BE60: 85153C24
	s_mov_b64 exec, s[20:21]                                   // 00000000BE64: BEFE0114
	global_atomic_add_f32 v6, v86, s[8:9] offset:8             // 00000000BE68: DD348008 00085606
	global_atomic_add_f32 v6, v90, s[8:9] offset:264           // 00000000BE70: DD348108 00085A06
	s_mov_b64 exec, s[36:37]                                   // 00000000BE78: BEFE0124
	v_mov_b32_e32 v6, v57                                      // 00000000BE7C: 7E0C0339
	s_mov_b64 s[60:61], 0                                      // 00000000BE80: BEBC0180
	v_readlane_b32 s82, v3, 10                                 // 00000000BE84: D2890052 00011503
	s_and_b32 s82, s82, 0xffffff                               // 00000000BE8C: 8652FF52 00FFFFFF
	s_cmp_lt_u32 s82, s66                                      // 00000000BE94: BF0A4252
	s_cselect_b32 s20, s36, s60                                // 00000000BE98: 85143C24
	v_readlane_b32 s82, v3, 11                                 // 00000000BE9C: D2890052 00011703
	s_and_b32 s82, s82, 0xffffff                               // 00000000BEA4: 8652FF52 00FFFFFF
	s_cmp_lt_u32 s82, s66                                      // 00000000BEAC: BF0A4252
	s_cselect_b32 s21, s36, s60                                // 00000000BEB0: 85153C24
	s_mov_b64 exec, s[20:21]                                   // 00000000BEB4: BEFE0114
	global_atomic_add_f32 v6, v87, s[8:9] offset:8             // 00000000BEB8: DD348008 00085706
	global_atomic_add_f32 v6, v91, s[8:9] offset:264           // 00000000BEC0: DD348108 00085B06
	s_mov_b64 exec, s[36:37]                                   // 00000000BEC8: BEFE0124
	v_mov_b32_e32 v6, v58                                      // 00000000BECC: 7E0C033A
	s_mov_b64 s[60:61], 0                                      // 00000000BED0: BEBC0180
	v_readlane_b32 s82, v3, 12                                 // 00000000BED4: D2890052 00011903
	s_and_b32 s82, s82, 0xffffff                               // 00000000BEDC: 8652FF52 00FFFFFF
	s_cmp_lt_u32 s82, s66                                      // 00000000BEE4: BF0A4252
	s_cselect_b32 s20, s36, s60                                // 00000000BEE8: 85143C24
	v_readlane_b32 s82, v3, 13                                 // 00000000BEEC: D2890052 00011B03
	s_and_b32 s82, s82, 0xffffff                               // 00000000BEF4: 8652FF52 00FFFFFF
	s_cmp_lt_u32 s82, s66                                      // 00000000BEFC: BF0A4252
	s_cselect_b32 s21, s36, s60                                // 00000000BF00: 85153C24
	s_mov_b64 exec, s[20:21]                                   // 00000000BF04: BEFE0114
	global_atomic_add_f32 v6, v94, s[8:9] offset:8             // 00000000BF08: DD348008 00085E06
	global_atomic_add_f32 v6, v98, s[8:9] offset:264           // 00000000BF10: DD348108 00086206
	s_mov_b64 exec, s[36:37]                                   // 00000000BF18: BEFE0124
	v_mov_b32_e32 v6, v59                                      // 00000000BF1C: 7E0C033B
	s_mov_b64 s[60:61], 0                                      // 00000000BF20: BEBC0180
	v_readlane_b32 s82, v3, 14                                 // 00000000BF24: D2890052 00011D03
	s_and_b32 s82, s82, 0xffffff                               // 00000000BF2C: 8652FF52 00FFFFFF
	s_cmp_lt_u32 s82, s66                                      // 00000000BF34: BF0A4252
	s_cselect_b32 s20, s36, s60                                // 00000000BF38: 85143C24
	v_readlane_b32 s82, v3, 15                                 // 00000000BF3C: D2890052 00011F03
	s_and_b32 s82, s82, 0xffffff                               // 00000000BF44: 8652FF52 00FFFFFF
	s_cmp_lt_u32 s82, s66                                      // 00000000BF4C: BF0A4252
	s_cselect_b32 s21, s36, s60                                // 00000000BF50: 85153C24
	s_mov_b64 exec, s[20:21]                                   // 00000000BF54: BEFE0114
	global_atomic_add_f32 v6, v95, s[8:9] offset:8             // 00000000BF58: DD348008 00085F06
	global_atomic_add_f32 v6, v99, s[8:9] offset:264           // 00000000BF60: DD348108 00086306
	s_mov_b64 exec, s[36:37]                                   // 00000000BF68: BEFE0124
	v_mov_b32_e32 v6, v60                                      // 00000000BF6C: 7E0C033C
	s_mov_b64 s[60:61], 0                                      // 00000000BF70: BEBC0180
	v_readlane_b32 s82, v3, 16                                 // 00000000BF74: D2890052 00012103
	s_and_b32 s82, s82, 0xffffff                               // 00000000BF7C: 8652FF52 00FFFFFF
	s_cmp_lt_u32 s82, s66                                      // 00000000BF84: BF0A4252
	s_cselect_b32 s20, s36, s60                                // 00000000BF88: 85143C24
	v_readlane_b32 s82, v3, 17                                 // 00000000BF8C: D2890052 00012303
	s_and_b32 s82, s82, 0xffffff                               // 00000000BF94: 8652FF52 00FFFFFF
	s_cmp_lt_u32 s82, s66                                      // 00000000BF9C: BF0A4252
	s_cselect_b32 s21, s36, s60                                // 00000000BFA0: 85153C24
	s_mov_b64 exec, s[20:21]                                   // 00000000BFA4: BEFE0114
	global_atomic_add_f32 v6, v102, s[8:9] offset:8            // 00000000BFA8: DD348008 00086606
	global_atomic_add_f32 v6, v106, s[8:9] offset:264          // 00000000BFB0: DD348108 00086A06
	s_mov_b64 exec, s[36:37]                                   // 00000000BFB8: BEFE0124
	v_mov_b32_e32 v6, v61                                      // 00000000BFBC: 7E0C033D
	s_mov_b64 s[60:61], 0                                      // 00000000BFC0: BEBC0180
	v_readlane_b32 s82, v3, 18                                 // 00000000BFC4: D2890052 00012503
	s_and_b32 s82, s82, 0xffffff                               // 00000000BFCC: 8652FF52 00FFFFFF
	s_cmp_lt_u32 s82, s66                                      // 00000000BFD4: BF0A4252
	s_cselect_b32 s20, s36, s60                                // 00000000BFD8: 85143C24
	v_readlane_b32 s82, v3, 19                                 // 00000000BFDC: D2890052 00012703
	s_and_b32 s82, s82, 0xffffff                               // 00000000BFE4: 8652FF52 00FFFFFF
	s_cmp_lt_u32 s82, s66                                      // 00000000BFEC: BF0A4252
	s_cselect_b32 s21, s36, s60                                // 00000000BFF0: 85153C24
	s_mov_b64 exec, s[20:21]                                   // 00000000BFF4: BEFE0114
	global_atomic_add_f32 v6, v103, s[8:9] offset:8            // 00000000BFF8: DD348008 00086706
	global_atomic_add_f32 v6, v107, s[8:9] offset:264          // 00000000C000: DD348108 00086B06
	s_mov_b64 exec, s[36:37]                                   // 00000000C008: BEFE0124
	v_mov_b32_e32 v6, v62                                      // 00000000C00C: 7E0C033E
	s_mov_b64 s[60:61], 0                                      // 00000000C010: BEBC0180
	v_readlane_b32 s82, v3, 20                                 // 00000000C014: D2890052 00012903
	s_and_b32 s82, s82, 0xffffff                               // 00000000C01C: 8652FF52 00FFFFFF
	s_cmp_lt_u32 s82, s66                                      // 00000000C024: BF0A4252
	s_cselect_b32 s20, s36, s60                                // 00000000C028: 85143C24
	v_readlane_b32 s82, v3, 21                                 // 00000000C02C: D2890052 00012B03
	s_and_b32 s82, s82, 0xffffff                               // 00000000C034: 8652FF52 00FFFFFF
	s_cmp_lt_u32 s82, s66                                      // 00000000C03C: BF0A4252
	s_cselect_b32 s21, s36, s60                                // 00000000C040: 85153C24
	s_mov_b64 exec, s[20:21]                                   // 00000000C044: BEFE0114
	global_atomic_add_f32 v6, v110, s[8:9] offset:8            // 00000000C048: DD348008 00086E06
	global_atomic_add_f32 v6, v114, s[8:9] offset:264          // 00000000C050: DD348108 00087206
	s_mov_b64 exec, s[36:37]                                   // 00000000C058: BEFE0124
	v_mov_b32_e32 v6, v63                                      // 00000000C05C: 7E0C033F
	s_mov_b64 s[60:61], 0                                      // 00000000C060: BEBC0180
	v_readlane_b32 s82, v3, 22                                 // 00000000C064: D2890052 00012D03
	s_and_b32 s82, s82, 0xffffff                               // 00000000C06C: 8652FF52 00FFFFFF
	s_cmp_lt_u32 s82, s66                                      // 00000000C074: BF0A4252
	s_cselect_b32 s20, s36, s60                                // 00000000C078: 85143C24
	v_readlane_b32 s82, v3, 23                                 // 00000000C07C: D2890052 00012F03
	s_and_b32 s82, s82, 0xffffff                               // 00000000C084: 8652FF52 00FFFFFF
	s_cmp_lt_u32 s82, s66                                      // 00000000C08C: BF0A4252
	s_cselect_b32 s21, s36, s60                                // 00000000C090: 85153C24
	s_mov_b64 exec, s[20:21]                                   // 00000000C094: BEFE0114
	global_atomic_add_f32 v6, v111, s[8:9] offset:8            // 00000000C098: DD348008 00086F06
	global_atomic_add_f32 v6, v115, s[8:9] offset:264          // 00000000C0A0: DD348108 00087306
	s_mov_b64 exec, s[36:37]                                   // 00000000C0A8: BEFE0124
	ds_write_b64 v20, v[116:117]                               // 00000000C0AC: D89A0000 00007414
	ds_write_b64 v20, v[120:121] offset:4352                   // 00000000C0B4: D89A1100 00007814
	ds_write_b64 v20, v[124:125] offset:8704                   // 00000000C0BC: D89A2200 00007C14
	ds_write_b64 v20, v[128:129] offset:13056                  // 00000000C0C4: D89A3300 00008014
	ds_write_b64 v20, v[132:133] offset:17408                  // 00000000C0CC: D89A4400 00008414
	ds_write_b64 v20, v[136:137] offset:21760                  // 00000000C0D4: D89A5500 00008814
	ds_write_b64 v20, v[140:141] offset:2176                   // 00000000C0DC: D89A0880 00008C14
	ds_write_b64 v20, v[144:145] offset:6528                   // 00000000C0E4: D89A1980 00009014
	ds_write_b64 v20, v[148:149] offset:10880                  // 00000000C0EC: D89A2A80 00009414
	ds_write_b64 v20, v[152:153] offset:15232                  // 00000000C0F4: D89A3B80 00009814
	ds_write_b64 v20, v[156:157] offset:19584                  // 00000000C0FC: D89A4C80 00009C14
	ds_write_b64 v20, v[160:161] offset:23936                  // 00000000C104: D89A5D80 0000A014
	s_waitcnt lgkmcnt(0)                                       // 00000000C10C: BF8CC07F
	s_barrier                                                  // 00000000C110: BF8A0000
	ds_read_b32 v116, v21                                      // 00000000C114: D86C0000 74000015
	ds_read_b32 v117, v21 offset:64                            // 00000000C11C: D86C0040 75000015
	ds_read_b32 v120, v21 offset:2176                          // 00000000C124: D86C0880 78000015
	ds_read_b32 v121, v21 offset:2240                          // 00000000C12C: D86C08C0 79000015
	ds_read_b32 v124, v21 offset:4352                          // 00000000C134: D86C1100 7C000015
	ds_read_b32 v125, v21 offset:4416                          // 00000000C13C: D86C1140 7D000015
	ds_read_b32 v128, v21 offset:6528                          // 00000000C144: D86C1980 80000015
	ds_read_b32 v129, v21 offset:6592                          // 00000000C14C: D86C19C0 81000015
	ds_read_b32 v132, v21 offset:8704                          // 00000000C154: D86C2200 84000015
	ds_read_b32 v133, v21 offset:8768                          // 00000000C15C: D86C2240 85000015
	ds_read_b32 v136, v21 offset:10880                         // 00000000C164: D86C2A80 88000015
	ds_read_b32 v137, v21 offset:10944                         // 00000000C16C: D86C2AC0 89000015
	ds_read_b32 v140, v21 offset:13056                         // 00000000C174: D86C3300 8C000015
	ds_read_b32 v141, v21 offset:13120                         // 00000000C17C: D86C3340 8D000015
	ds_read_b32 v144, v21 offset:15232                         // 00000000C184: D86C3B80 90000015
	ds_read_b32 v145, v21 offset:15296                         // 00000000C18C: D86C3BC0 91000015
	ds_read_b32 v148, v21 offset:17408                         // 00000000C194: D86C4400 94000015
	ds_read_b32 v149, v21 offset:17472                         // 00000000C19C: D86C4440 95000015
	ds_read_b32 v152, v21 offset:19584                         // 00000000C1A4: D86C4C80 98000015
	ds_read_b32 v153, v21 offset:19648                         // 00000000C1AC: D86C4CC0 99000015
	ds_read_b32 v156, v21 offset:21760                         // 00000000C1B4: D86C5500 9C000015
	ds_read_b32 v157, v21 offset:21824                         // 00000000C1BC: D86C5540 9D000015
	ds_read_b32 v160, v21 offset:23936                         // 00000000C1C4: D86C5D80 A0000015
	ds_read_b32 v161, v21 offset:24000                         // 00000000C1CC: D86C5DC0 A1000015
	s_mul_i32 s60, s65, 4                                      // 00000000C1D4: 923C8441
	s_add_u32 s8, s60, s8                                      // 00000000C1D8: 8008083C
	s_addc_u32 s9, 0, s9                                       // 00000000C1DC: 82090980
	s_waitcnt lgkmcnt(0)                                       // 00000000C1E0: BF8CC07F
	v_mov_b32_e32 v7, 0                                        // 00000000C1E4: 7E0E0280
	s_mov_b64 exec, s[36:37]                                   // 00000000C1E8: BEFE0124
	v_mov_b32_e32 v6, v52                                      // 00000000C1EC: 7E0C0334
	s_mov_b64 s[60:61], 0                                      // 00000000C1F0: BEBC0180
	v_readlane_b32 s82, v3, 0                                  // 00000000C1F4: D2890052 00010103
	s_and_b32 s82, s82, 0xffffff                               // 00000000C1FC: 8652FF52 00FFFFFF
	s_cmp_lt_u32 s82, s66                                      // 00000000C204: BF0A4252
	s_cselect_b32 s20, s36, s60                                // 00000000C208: 85143C24
	v_readlane_b32 s82, v3, 1                                  // 00000000C20C: D2890052 00010303
	s_and_b32 s82, s82, 0xffffff                               // 00000000C214: 8652FF52 00FFFFFF
	s_cmp_lt_u32 s82, s66                                      // 00000000C21C: BF0A4252
	s_cselect_b32 s21, s36, s60                                // 00000000C220: 85153C24
	s_mov_b64 exec, s[20:21]                                   // 00000000C224: BEFE0114
	global_atomic_add_f32 v6, v116, s[8:9]                     // 00000000C228: DD348000 00087406
	global_atomic_add_f32 v6, v120, s[8:9] offset:256          // 00000000C230: DD348100 00087806
	s_mov_b64 exec, s[36:37]                                   // 00000000C238: BEFE0124
	v_mov_b32_e32 v6, v53                                      // 00000000C23C: 7E0C0335
	s_mov_b64 s[60:61], 0                                      // 00000000C240: BEBC0180
	v_readlane_b32 s82, v3, 2                                  // 00000000C244: D2890052 00010503
	s_and_b32 s82, s82, 0xffffff                               // 00000000C24C: 8652FF52 00FFFFFF
	s_cmp_lt_u32 s82, s66                                      // 00000000C254: BF0A4252
	s_cselect_b32 s20, s36, s60                                // 00000000C258: 85143C24
	v_readlane_b32 s82, v3, 3                                  // 00000000C25C: D2890052 00010703
	s_and_b32 s82, s82, 0xffffff                               // 00000000C264: 8652FF52 00FFFFFF
	s_cmp_lt_u32 s82, s66                                      // 00000000C26C: BF0A4252
	s_cselect_b32 s21, s36, s60                                // 00000000C270: 85153C24
	s_mov_b64 exec, s[20:21]                                   // 00000000C274: BEFE0114
	global_atomic_add_f32 v6, v117, s[8:9]                     // 00000000C278: DD348000 00087506
	global_atomic_add_f32 v6, v121, s[8:9] offset:256          // 00000000C280: DD348100 00087906
	s_mov_b64 exec, s[36:37]                                   // 00000000C288: BEFE0124
	v_mov_b32_e32 v6, v54                                      // 00000000C28C: 7E0C0336
	s_mov_b64 s[60:61], 0                                      // 00000000C290: BEBC0180
	v_readlane_b32 s82, v3, 4                                  // 00000000C294: D2890052 00010903
	s_and_b32 s82, s82, 0xffffff                               // 00000000C29C: 8652FF52 00FFFFFF
	s_cmp_lt_u32 s82, s66                                      // 00000000C2A4: BF0A4252
	s_cselect_b32 s20, s36, s60                                // 00000000C2A8: 85143C24
	v_readlane_b32 s82, v3, 5                                  // 00000000C2AC: D2890052 00010B03
	s_and_b32 s82, s82, 0xffffff                               // 00000000C2B4: 8652FF52 00FFFFFF
	s_cmp_lt_u32 s82, s66                                      // 00000000C2BC: BF0A4252
	s_cselect_b32 s21, s36, s60                                // 00000000C2C0: 85153C24
	s_mov_b64 exec, s[20:21]                                   // 00000000C2C4: BEFE0114
	global_atomic_add_f32 v6, v124, s[8:9]                     // 00000000C2C8: DD348000 00087C06
	global_atomic_add_f32 v6, v128, s[8:9] offset:256          // 00000000C2D0: DD348100 00088006
	s_mov_b64 exec, s[36:37]                                   // 00000000C2D8: BEFE0124
	v_mov_b32_e32 v6, v55                                      // 00000000C2DC: 7E0C0337
	s_mov_b64 s[60:61], 0                                      // 00000000C2E0: BEBC0180
	v_readlane_b32 s82, v3, 6                                  // 00000000C2E4: D2890052 00010D03
	s_and_b32 s82, s82, 0xffffff                               // 00000000C2EC: 8652FF52 00FFFFFF
	s_cmp_lt_u32 s82, s66                                      // 00000000C2F4: BF0A4252
	s_cselect_b32 s20, s36, s60                                // 00000000C2F8: 85143C24
	v_readlane_b32 s82, v3, 7                                  // 00000000C2FC: D2890052 00010F03
	s_and_b32 s82, s82, 0xffffff                               // 00000000C304: 8652FF52 00FFFFFF
	s_cmp_lt_u32 s82, s66                                      // 00000000C30C: BF0A4252
	s_cselect_b32 s21, s36, s60                                // 00000000C310: 85153C24
	s_mov_b64 exec, s[20:21]                                   // 00000000C314: BEFE0114
	global_atomic_add_f32 v6, v125, s[8:9]                     // 00000000C318: DD348000 00087D06
	global_atomic_add_f32 v6, v129, s[8:9] offset:256          // 00000000C320: DD348100 00088106
	s_mov_b64 exec, s[36:37]                                   // 00000000C328: BEFE0124
	v_mov_b32_e32 v6, v56                                      // 00000000C32C: 7E0C0338
	s_mov_b64 s[60:61], 0                                      // 00000000C330: BEBC0180
	v_readlane_b32 s82, v3, 8                                  // 00000000C334: D2890052 00011103
	s_and_b32 s82, s82, 0xffffff                               // 00000000C33C: 8652FF52 00FFFFFF
	s_cmp_lt_u32 s82, s66                                      // 00000000C344: BF0A4252
	s_cselect_b32 s20, s36, s60                                // 00000000C348: 85143C24
	v_readlane_b32 s82, v3, 9                                  // 00000000C34C: D2890052 00011303
	s_and_b32 s82, s82, 0xffffff                               // 00000000C354: 8652FF52 00FFFFFF
	s_cmp_lt_u32 s82, s66                                      // 00000000C35C: BF0A4252
	s_cselect_b32 s21, s36, s60                                // 00000000C360: 85153C24
	s_mov_b64 exec, s[20:21]                                   // 00000000C364: BEFE0114
	global_atomic_add_f32 v6, v132, s[8:9]                     // 00000000C368: DD348000 00088406
	global_atomic_add_f32 v6, v136, s[8:9] offset:256          // 00000000C370: DD348100 00088806
	s_mov_b64 exec, s[36:37]                                   // 00000000C378: BEFE0124
	v_mov_b32_e32 v6, v57                                      // 00000000C37C: 7E0C0339
	s_mov_b64 s[60:61], 0                                      // 00000000C380: BEBC0180
	v_readlane_b32 s82, v3, 10                                 // 00000000C384: D2890052 00011503
	s_and_b32 s82, s82, 0xffffff                               // 00000000C38C: 8652FF52 00FFFFFF
	s_cmp_lt_u32 s82, s66                                      // 00000000C394: BF0A4252
	s_cselect_b32 s20, s36, s60                                // 00000000C398: 85143C24
	v_readlane_b32 s82, v3, 11                                 // 00000000C39C: D2890052 00011703
	s_and_b32 s82, s82, 0xffffff                               // 00000000C3A4: 8652FF52 00FFFFFF
	s_cmp_lt_u32 s82, s66                                      // 00000000C3AC: BF0A4252
	s_cselect_b32 s21, s36, s60                                // 00000000C3B0: 85153C24
	s_mov_b64 exec, s[20:21]                                   // 00000000C3B4: BEFE0114
	global_atomic_add_f32 v6, v133, s[8:9]                     // 00000000C3B8: DD348000 00088506
	global_atomic_add_f32 v6, v137, s[8:9] offset:256          // 00000000C3C0: DD348100 00088906
	s_mov_b64 exec, s[36:37]                                   // 00000000C3C8: BEFE0124
	v_mov_b32_e32 v6, v58                                      // 00000000C3CC: 7E0C033A
	s_mov_b64 s[60:61], 0                                      // 00000000C3D0: BEBC0180
	v_readlane_b32 s82, v3, 12                                 // 00000000C3D4: D2890052 00011903
	s_and_b32 s82, s82, 0xffffff                               // 00000000C3DC: 8652FF52 00FFFFFF
	s_cmp_lt_u32 s82, s66                                      // 00000000C3E4: BF0A4252
	s_cselect_b32 s20, s36, s60                                // 00000000C3E8: 85143C24
	v_readlane_b32 s82, v3, 13                                 // 00000000C3EC: D2890052 00011B03
	s_and_b32 s82, s82, 0xffffff                               // 00000000C3F4: 8652FF52 00FFFFFF
	s_cmp_lt_u32 s82, s66                                      // 00000000C3FC: BF0A4252
	s_cselect_b32 s21, s36, s60                                // 00000000C400: 85153C24
	s_mov_b64 exec, s[20:21]                                   // 00000000C404: BEFE0114
	global_atomic_add_f32 v6, v140, s[8:9]                     // 00000000C408: DD348000 00088C06
	global_atomic_add_f32 v6, v144, s[8:9] offset:256          // 00000000C410: DD348100 00089006
	s_mov_b64 exec, s[36:37]                                   // 00000000C418: BEFE0124
	v_mov_b32_e32 v6, v59                                      // 00000000C41C: 7E0C033B
	s_mov_b64 s[60:61], 0                                      // 00000000C420: BEBC0180
	v_readlane_b32 s82, v3, 14                                 // 00000000C424: D2890052 00011D03
	s_and_b32 s82, s82, 0xffffff                               // 00000000C42C: 8652FF52 00FFFFFF
	s_cmp_lt_u32 s82, s66                                      // 00000000C434: BF0A4252
	s_cselect_b32 s20, s36, s60                                // 00000000C438: 85143C24
	v_readlane_b32 s82, v3, 15                                 // 00000000C43C: D2890052 00011F03
	s_and_b32 s82, s82, 0xffffff                               // 00000000C444: 8652FF52 00FFFFFF
	s_cmp_lt_u32 s82, s66                                      // 00000000C44C: BF0A4252
	s_cselect_b32 s21, s36, s60                                // 00000000C450: 85153C24
	s_mov_b64 exec, s[20:21]                                   // 00000000C454: BEFE0114
	global_atomic_add_f32 v6, v141, s[8:9]                     // 00000000C458: DD348000 00088D06
	global_atomic_add_f32 v6, v145, s[8:9] offset:256          // 00000000C460: DD348100 00089106
	s_mov_b64 exec, s[36:37]                                   // 00000000C468: BEFE0124
	v_mov_b32_e32 v6, v60                                      // 00000000C46C: 7E0C033C
	s_mov_b64 s[60:61], 0                                      // 00000000C470: BEBC0180
	v_readlane_b32 s82, v3, 16                                 // 00000000C474: D2890052 00012103
	s_and_b32 s82, s82, 0xffffff                               // 00000000C47C: 8652FF52 00FFFFFF
	s_cmp_lt_u32 s82, s66                                      // 00000000C484: BF0A4252
	s_cselect_b32 s20, s36, s60                                // 00000000C488: 85143C24
	v_readlane_b32 s82, v3, 17                                 // 00000000C48C: D2890052 00012303
	s_and_b32 s82, s82, 0xffffff                               // 00000000C494: 8652FF52 00FFFFFF
	s_cmp_lt_u32 s82, s66                                      // 00000000C49C: BF0A4252
	s_cselect_b32 s21, s36, s60                                // 00000000C4A0: 85153C24
	s_mov_b64 exec, s[20:21]                                   // 00000000C4A4: BEFE0114
	global_atomic_add_f32 v6, v148, s[8:9]                     // 00000000C4A8: DD348000 00089406
	global_atomic_add_f32 v6, v152, s[8:9] offset:256          // 00000000C4B0: DD348100 00089806
	s_mov_b64 exec, s[36:37]                                   // 00000000C4B8: BEFE0124
	v_mov_b32_e32 v6, v61                                      // 00000000C4BC: 7E0C033D
	s_mov_b64 s[60:61], 0                                      // 00000000C4C0: BEBC0180
	v_readlane_b32 s82, v3, 18                                 // 00000000C4C4: D2890052 00012503
	s_and_b32 s82, s82, 0xffffff                               // 00000000C4CC: 8652FF52 00FFFFFF
	s_cmp_lt_u32 s82, s66                                      // 00000000C4D4: BF0A4252
	s_cselect_b32 s20, s36, s60                                // 00000000C4D8: 85143C24
	v_readlane_b32 s82, v3, 19                                 // 00000000C4DC: D2890052 00012703
	s_and_b32 s82, s82, 0xffffff                               // 00000000C4E4: 8652FF52 00FFFFFF
	s_cmp_lt_u32 s82, s66                                      // 00000000C4EC: BF0A4252
	s_cselect_b32 s21, s36, s60                                // 00000000C4F0: 85153C24
	s_mov_b64 exec, s[20:21]                                   // 00000000C4F4: BEFE0114
	global_atomic_add_f32 v6, v149, s[8:9]                     // 00000000C4F8: DD348000 00089506
	global_atomic_add_f32 v6, v153, s[8:9] offset:256          // 00000000C500: DD348100 00089906
	s_mov_b64 exec, s[36:37]                                   // 00000000C508: BEFE0124
	v_mov_b32_e32 v6, v62                                      // 00000000C50C: 7E0C033E
	s_mov_b64 s[60:61], 0                                      // 00000000C510: BEBC0180
	v_readlane_b32 s82, v3, 20                                 // 00000000C514: D2890052 00012903
	s_and_b32 s82, s82, 0xffffff                               // 00000000C51C: 8652FF52 00FFFFFF
	s_cmp_lt_u32 s82, s66                                      // 00000000C524: BF0A4252
	s_cselect_b32 s20, s36, s60                                // 00000000C528: 85143C24
	v_readlane_b32 s82, v3, 21                                 // 00000000C52C: D2890052 00012B03
	s_and_b32 s82, s82, 0xffffff                               // 00000000C534: 8652FF52 00FFFFFF
	s_cmp_lt_u32 s82, s66                                      // 00000000C53C: BF0A4252
	s_cselect_b32 s21, s36, s60                                // 00000000C540: 85153C24
	s_mov_b64 exec, s[20:21]                                   // 00000000C544: BEFE0114
	global_atomic_add_f32 v6, v156, s[8:9]                     // 00000000C548: DD348000 00089C06
	global_atomic_add_f32 v6, v160, s[8:9] offset:256          // 00000000C550: DD348100 0008A006
	s_mov_b64 exec, s[36:37]                                   // 00000000C558: BEFE0124
	v_mov_b32_e32 v6, v63                                      // 00000000C55C: 7E0C033F
	s_mov_b64 s[60:61], 0                                      // 00000000C560: BEBC0180
	v_readlane_b32 s82, v3, 22                                 // 00000000C564: D2890052 00012D03
	s_and_b32 s82, s82, 0xffffff                               // 00000000C56C: 8652FF52 00FFFFFF
	s_cmp_lt_u32 s82, s66                                      // 00000000C574: BF0A4252
	s_cselect_b32 s20, s36, s60                                // 00000000C578: 85143C24
	v_readlane_b32 s82, v3, 23                                 // 00000000C57C: D2890052 00012F03
	s_and_b32 s82, s82, 0xffffff                               // 00000000C584: 8652FF52 00FFFFFF
	s_cmp_lt_u32 s82, s66                                      // 00000000C58C: BF0A4252
	s_cselect_b32 s21, s36, s60                                // 00000000C590: 85153C24
	s_mov_b64 exec, s[20:21]                                   // 00000000C594: BEFE0114
	global_atomic_add_f32 v6, v157, s[8:9]                     // 00000000C598: DD348000 00089D06
	global_atomic_add_f32 v6, v161, s[8:9] offset:256          // 00000000C5A0: DD348100 0008A106
	s_mov_b64 exec, s[36:37]                                   // 00000000C5A8: BEFE0124
	ds_write_b64 v20, v[118:119]                               // 00000000C5AC: D89A0000 00007614
	ds_write_b64 v20, v[122:123] offset:4352                   // 00000000C5B4: D89A1100 00007A14
	ds_write_b64 v20, v[126:127] offset:8704                   // 00000000C5BC: D89A2200 00007E14
	ds_write_b64 v20, v[130:131] offset:13056                  // 00000000C5C4: D89A3300 00008214
	ds_write_b64 v20, v[134:135] offset:17408                  // 00000000C5CC: D89A4400 00008614
	ds_write_b64 v20, v[138:139] offset:21760                  // 00000000C5D4: D89A5500 00008A14
	ds_write_b64 v20, v[142:143] offset:2176                   // 00000000C5DC: D89A0880 00008E14
	ds_write_b64 v20, v[146:147] offset:6528                   // 00000000C5E4: D89A1980 00009214
	ds_write_b64 v20, v[150:151] offset:10880                  // 00000000C5EC: D89A2A80 00009614
	ds_write_b64 v20, v[154:155] offset:15232                  // 00000000C5F4: D89A3B80 00009A14
	ds_write_b64 v20, v[158:159] offset:19584                  // 00000000C5FC: D89A4C80 00009E14
	ds_write_b64 v20, v[162:163] offset:23936                  // 00000000C604: D89A5D80 0000A214
	s_waitcnt lgkmcnt(0)                                       // 00000000C60C: BF8CC07F
	s_barrier                                                  // 00000000C610: BF8A0000
	ds_read_b32 v118, v21                                      // 00000000C614: D86C0000 76000015
	ds_read_b32 v119, v21 offset:64                            // 00000000C61C: D86C0040 77000015
	ds_read_b32 v122, v21 offset:2176                          // 00000000C624: D86C0880 7A000015
	ds_read_b32 v123, v21 offset:2240                          // 00000000C62C: D86C08C0 7B000015
	ds_read_b32 v126, v21 offset:4352                          // 00000000C634: D86C1100 7E000015
	ds_read_b32 v127, v21 offset:4416                          // 00000000C63C: D86C1140 7F000015
	ds_read_b32 v130, v21 offset:6528                          // 00000000C644: D86C1980 82000015
	ds_read_b32 v131, v21 offset:6592                          // 00000000C64C: D86C19C0 83000015
	ds_read_b32 v134, v21 offset:8704                          // 00000000C654: D86C2200 86000015
	ds_read_b32 v135, v21 offset:8768                          // 00000000C65C: D86C2240 87000015
	ds_read_b32 v138, v21 offset:10880                         // 00000000C664: D86C2A80 8A000015
	ds_read_b32 v139, v21 offset:10944                         // 00000000C66C: D86C2AC0 8B000015
	ds_read_b32 v142, v21 offset:13056                         // 00000000C674: D86C3300 8E000015
	ds_read_b32 v143, v21 offset:13120                         // 00000000C67C: D86C3340 8F000015
	ds_read_b32 v146, v21 offset:15232                         // 00000000C684: D86C3B80 92000015
	ds_read_b32 v147, v21 offset:15296                         // 00000000C68C: D86C3BC0 93000015
	ds_read_b32 v150, v21 offset:17408                         // 00000000C694: D86C4400 96000015
	ds_read_b32 v151, v21 offset:17472                         // 00000000C69C: D86C4440 97000015
	ds_read_b32 v154, v21 offset:19584                         // 00000000C6A4: D86C4C80 9A000015
	ds_read_b32 v155, v21 offset:19648                         // 00000000C6AC: D86C4CC0 9B000015
	ds_read_b32 v158, v21 offset:21760                         // 00000000C6B4: D86C5500 9E000015
	ds_read_b32 v159, v21 offset:21824                         // 00000000C6BC: D86C5540 9F000015
	ds_read_b32 v162, v21 offset:23936                         // 00000000C6C4: D86C5D80 A2000015
	ds_read_b32 v163, v21 offset:24000                         // 00000000C6CC: D86C5DC0 A3000015
	s_waitcnt lgkmcnt(0)                                       // 00000000C6D4: BF8CC07F
	v_mov_b32_e32 v7, 0                                        // 00000000C6D8: 7E0E0280
	s_mov_b64 exec, s[36:37]                                   // 00000000C6DC: BEFE0124
	v_mov_b32_e32 v6, v52                                      // 00000000C6E0: 7E0C0334
	s_mov_b64 s[60:61], 0                                      // 00000000C6E4: BEBC0180
	v_readlane_b32 s82, v3, 0                                  // 00000000C6E8: D2890052 00010103
	s_and_b32 s82, s82, 0xffffff                               // 00000000C6F0: 8652FF52 00FFFFFF
	s_cmp_lt_u32 s82, s66                                      // 00000000C6F8: BF0A4252
	s_cselect_b32 s20, s36, s60                                // 00000000C6FC: 85143C24
	v_readlane_b32 s82, v3, 1                                  // 00000000C700: D2890052 00010303
	s_and_b32 s82, s82, 0xffffff                               // 00000000C708: 8652FF52 00FFFFFF
	s_cmp_lt_u32 s82, s66                                      // 00000000C710: BF0A4252
	s_cselect_b32 s21, s36, s60                                // 00000000C714: 85153C24
	s_mov_b64 exec, s[20:21]                                   // 00000000C718: BEFE0114
	global_atomic_add_f32 v6, v118, s[8:9] offset:8            // 00000000C71C: DD348008 00087606
	global_atomic_add_f32 v6, v122, s[8:9] offset:264          // 00000000C724: DD348108 00087A06
	s_mov_b64 exec, s[36:37]                                   // 00000000C72C: BEFE0124
	v_mov_b32_e32 v6, v53                                      // 00000000C730: 7E0C0335
	s_mov_b64 s[60:61], 0                                      // 00000000C734: BEBC0180
	v_readlane_b32 s82, v3, 2                                  // 00000000C738: D2890052 00010503
	s_and_b32 s82, s82, 0xffffff                               // 00000000C740: 8652FF52 00FFFFFF
	s_cmp_lt_u32 s82, s66                                      // 00000000C748: BF0A4252
	s_cselect_b32 s20, s36, s60                                // 00000000C74C: 85143C24
	v_readlane_b32 s82, v3, 3                                  // 00000000C750: D2890052 00010703
	s_and_b32 s82, s82, 0xffffff                               // 00000000C758: 8652FF52 00FFFFFF
	s_cmp_lt_u32 s82, s66                                      // 00000000C760: BF0A4252
	s_cselect_b32 s21, s36, s60                                // 00000000C764: 85153C24
	s_mov_b64 exec, s[20:21]                                   // 00000000C768: BEFE0114
	global_atomic_add_f32 v6, v119, s[8:9] offset:8            // 00000000C76C: DD348008 00087706
	global_atomic_add_f32 v6, v123, s[8:9] offset:264          // 00000000C774: DD348108 00087B06
	s_mov_b64 exec, s[36:37]                                   // 00000000C77C: BEFE0124
	v_mov_b32_e32 v6, v54                                      // 00000000C780: 7E0C0336
	s_mov_b64 s[60:61], 0                                      // 00000000C784: BEBC0180
	v_readlane_b32 s82, v3, 4                                  // 00000000C788: D2890052 00010903
	s_and_b32 s82, s82, 0xffffff                               // 00000000C790: 8652FF52 00FFFFFF
	s_cmp_lt_u32 s82, s66                                      // 00000000C798: BF0A4252
	s_cselect_b32 s20, s36, s60                                // 00000000C79C: 85143C24
	v_readlane_b32 s82, v3, 5                                  // 00000000C7A0: D2890052 00010B03
	s_and_b32 s82, s82, 0xffffff                               // 00000000C7A8: 8652FF52 00FFFFFF
	s_cmp_lt_u32 s82, s66                                      // 00000000C7B0: BF0A4252
	s_cselect_b32 s21, s36, s60                                // 00000000C7B4: 85153C24
	s_mov_b64 exec, s[20:21]                                   // 00000000C7B8: BEFE0114
	global_atomic_add_f32 v6, v126, s[8:9] offset:8            // 00000000C7BC: DD348008 00087E06
	global_atomic_add_f32 v6, v130, s[8:9] offset:264          // 00000000C7C4: DD348108 00088206
	s_mov_b64 exec, s[36:37]                                   // 00000000C7CC: BEFE0124
	v_mov_b32_e32 v6, v55                                      // 00000000C7D0: 7E0C0337
	s_mov_b64 s[60:61], 0                                      // 00000000C7D4: BEBC0180
	v_readlane_b32 s82, v3, 6                                  // 00000000C7D8: D2890052 00010D03
	s_and_b32 s82, s82, 0xffffff                               // 00000000C7E0: 8652FF52 00FFFFFF
	s_cmp_lt_u32 s82, s66                                      // 00000000C7E8: BF0A4252
	s_cselect_b32 s20, s36, s60                                // 00000000C7EC: 85143C24
	v_readlane_b32 s82, v3, 7                                  // 00000000C7F0: D2890052 00010F03
	s_and_b32 s82, s82, 0xffffff                               // 00000000C7F8: 8652FF52 00FFFFFF
	s_cmp_lt_u32 s82, s66                                      // 00000000C800: BF0A4252
	s_cselect_b32 s21, s36, s60                                // 00000000C804: 85153C24
	s_mov_b64 exec, s[20:21]                                   // 00000000C808: BEFE0114
	global_atomic_add_f32 v6, v127, s[8:9] offset:8            // 00000000C80C: DD348008 00087F06
	global_atomic_add_f32 v6, v131, s[8:9] offset:264          // 00000000C814: DD348108 00088306
	s_mov_b64 exec, s[36:37]                                   // 00000000C81C: BEFE0124
	v_mov_b32_e32 v6, v56                                      // 00000000C820: 7E0C0338
	s_mov_b64 s[60:61], 0                                      // 00000000C824: BEBC0180
	v_readlane_b32 s82, v3, 8                                  // 00000000C828: D2890052 00011103
	s_and_b32 s82, s82, 0xffffff                               // 00000000C830: 8652FF52 00FFFFFF
	s_cmp_lt_u32 s82, s66                                      // 00000000C838: BF0A4252
	s_cselect_b32 s20, s36, s60                                // 00000000C83C: 85143C24
	v_readlane_b32 s82, v3, 9                                  // 00000000C840: D2890052 00011303
	s_and_b32 s82, s82, 0xffffff                               // 00000000C848: 8652FF52 00FFFFFF
	s_cmp_lt_u32 s82, s66                                      // 00000000C850: BF0A4252
	s_cselect_b32 s21, s36, s60                                // 00000000C854: 85153C24
	s_mov_b64 exec, s[20:21]                                   // 00000000C858: BEFE0114
	global_atomic_add_f32 v6, v134, s[8:9] offset:8            // 00000000C85C: DD348008 00088606
	global_atomic_add_f32 v6, v138, s[8:9] offset:264          // 00000000C864: DD348108 00088A06
	s_mov_b64 exec, s[36:37]                                   // 00000000C86C: BEFE0124
	v_mov_b32_e32 v6, v57                                      // 00000000C870: 7E0C0339
	s_mov_b64 s[60:61], 0                                      // 00000000C874: BEBC0180
	v_readlane_b32 s82, v3, 10                                 // 00000000C878: D2890052 00011503
	s_and_b32 s82, s82, 0xffffff                               // 00000000C880: 8652FF52 00FFFFFF
	s_cmp_lt_u32 s82, s66                                      // 00000000C888: BF0A4252
	s_cselect_b32 s20, s36, s60                                // 00000000C88C: 85143C24
	v_readlane_b32 s82, v3, 11                                 // 00000000C890: D2890052 00011703
	s_and_b32 s82, s82, 0xffffff                               // 00000000C898: 8652FF52 00FFFFFF
	s_cmp_lt_u32 s82, s66                                      // 00000000C8A0: BF0A4252
	s_cselect_b32 s21, s36, s60                                // 00000000C8A4: 85153C24
	s_mov_b64 exec, s[20:21]                                   // 00000000C8A8: BEFE0114
	global_atomic_add_f32 v6, v135, s[8:9] offset:8            // 00000000C8AC: DD348008 00088706
	global_atomic_add_f32 v6, v139, s[8:9] offset:264          // 00000000C8B4: DD348108 00088B06
	s_mov_b64 exec, s[36:37]                                   // 00000000C8BC: BEFE0124
	v_mov_b32_e32 v6, v58                                      // 00000000C8C0: 7E0C033A
	s_mov_b64 s[60:61], 0                                      // 00000000C8C4: BEBC0180
	v_readlane_b32 s82, v3, 12                                 // 00000000C8C8: D2890052 00011903
	s_and_b32 s82, s82, 0xffffff                               // 00000000C8D0: 8652FF52 00FFFFFF
	s_cmp_lt_u32 s82, s66                                      // 00000000C8D8: BF0A4252
	s_cselect_b32 s20, s36, s60                                // 00000000C8DC: 85143C24
	v_readlane_b32 s82, v3, 13                                 // 00000000C8E0: D2890052 00011B03
	s_and_b32 s82, s82, 0xffffff                               // 00000000C8E8: 8652FF52 00FFFFFF
	s_cmp_lt_u32 s82, s66                                      // 00000000C8F0: BF0A4252
	s_cselect_b32 s21, s36, s60                                // 00000000C8F4: 85153C24
	s_mov_b64 exec, s[20:21]                                   // 00000000C8F8: BEFE0114
	global_atomic_add_f32 v6, v142, s[8:9] offset:8            // 00000000C8FC: DD348008 00088E06
	global_atomic_add_f32 v6, v146, s[8:9] offset:264          // 00000000C904: DD348108 00089206
	s_mov_b64 exec, s[36:37]                                   // 00000000C90C: BEFE0124
	v_mov_b32_e32 v6, v59                                      // 00000000C910: 7E0C033B
	s_mov_b64 s[60:61], 0                                      // 00000000C914: BEBC0180
	v_readlane_b32 s82, v3, 14                                 // 00000000C918: D2890052 00011D03
	s_and_b32 s82, s82, 0xffffff                               // 00000000C920: 8652FF52 00FFFFFF
	s_cmp_lt_u32 s82, s66                                      // 00000000C928: BF0A4252
	s_cselect_b32 s20, s36, s60                                // 00000000C92C: 85143C24
	v_readlane_b32 s82, v3, 15                                 // 00000000C930: D2890052 00011F03
	s_and_b32 s82, s82, 0xffffff                               // 00000000C938: 8652FF52 00FFFFFF
	s_cmp_lt_u32 s82, s66                                      // 00000000C940: BF0A4252
	s_cselect_b32 s21, s36, s60                                // 00000000C944: 85153C24
	s_mov_b64 exec, s[20:21]                                   // 00000000C948: BEFE0114
	global_atomic_add_f32 v6, v143, s[8:9] offset:8            // 00000000C94C: DD348008 00088F06
	global_atomic_add_f32 v6, v147, s[8:9] offset:264          // 00000000C954: DD348108 00089306
	s_mov_b64 exec, s[36:37]                                   // 00000000C95C: BEFE0124
	v_mov_b32_e32 v6, v60                                      // 00000000C960: 7E0C033C
	s_mov_b64 s[60:61], 0                                      // 00000000C964: BEBC0180
	v_readlane_b32 s82, v3, 16                                 // 00000000C968: D2890052 00012103
	s_and_b32 s82, s82, 0xffffff                               // 00000000C970: 8652FF52 00FFFFFF
	s_cmp_lt_u32 s82, s66                                      // 00000000C978: BF0A4252
	s_cselect_b32 s20, s36, s60                                // 00000000C97C: 85143C24
	v_readlane_b32 s82, v3, 17                                 // 00000000C980: D2890052 00012303
	s_and_b32 s82, s82, 0xffffff                               // 00000000C988: 8652FF52 00FFFFFF
	s_cmp_lt_u32 s82, s66                                      // 00000000C990: BF0A4252
	s_cselect_b32 s21, s36, s60                                // 00000000C994: 85153C24
	s_mov_b64 exec, s[20:21]                                   // 00000000C998: BEFE0114
	global_atomic_add_f32 v6, v150, s[8:9] offset:8            // 00000000C99C: DD348008 00089606
	global_atomic_add_f32 v6, v154, s[8:9] offset:264          // 00000000C9A4: DD348108 00089A06
	s_mov_b64 exec, s[36:37]                                   // 00000000C9AC: BEFE0124
	v_mov_b32_e32 v6, v61                                      // 00000000C9B0: 7E0C033D
	s_mov_b64 s[60:61], 0                                      // 00000000C9B4: BEBC0180
	v_readlane_b32 s82, v3, 18                                 // 00000000C9B8: D2890052 00012503
	s_and_b32 s82, s82, 0xffffff                               // 00000000C9C0: 8652FF52 00FFFFFF
	s_cmp_lt_u32 s82, s66                                      // 00000000C9C8: BF0A4252
	s_cselect_b32 s20, s36, s60                                // 00000000C9CC: 85143C24
	v_readlane_b32 s82, v3, 19                                 // 00000000C9D0: D2890052 00012703
	s_and_b32 s82, s82, 0xffffff                               // 00000000C9D8: 8652FF52 00FFFFFF
	s_cmp_lt_u32 s82, s66                                      // 00000000C9E0: BF0A4252
	s_cselect_b32 s21, s36, s60                                // 00000000C9E4: 85153C24
	s_mov_b64 exec, s[20:21]                                   // 00000000C9E8: BEFE0114
	global_atomic_add_f32 v6, v151, s[8:9] offset:8            // 00000000C9EC: DD348008 00089706
	global_atomic_add_f32 v6, v155, s[8:9] offset:264          // 00000000C9F4: DD348108 00089B06
	s_mov_b64 exec, s[36:37]                                   // 00000000C9FC: BEFE0124
	v_mov_b32_e32 v6, v62                                      // 00000000CA00: 7E0C033E
	s_mov_b64 s[60:61], 0                                      // 00000000CA04: BEBC0180
	v_readlane_b32 s82, v3, 20                                 // 00000000CA08: D2890052 00012903
	s_and_b32 s82, s82, 0xffffff                               // 00000000CA10: 8652FF52 00FFFFFF
	s_cmp_lt_u32 s82, s66                                      // 00000000CA18: BF0A4252
	s_cselect_b32 s20, s36, s60                                // 00000000CA1C: 85143C24
	v_readlane_b32 s82, v3, 21                                 // 00000000CA20: D2890052 00012B03
	s_and_b32 s82, s82, 0xffffff                               // 00000000CA28: 8652FF52 00FFFFFF
	s_cmp_lt_u32 s82, s66                                      // 00000000CA30: BF0A4252
	s_cselect_b32 s21, s36, s60                                // 00000000CA34: 85153C24
	s_mov_b64 exec, s[20:21]                                   // 00000000CA38: BEFE0114
	global_atomic_add_f32 v6, v158, s[8:9] offset:8            // 00000000CA3C: DD348008 00089E06
	global_atomic_add_f32 v6, v162, s[8:9] offset:264          // 00000000CA44: DD348108 0008A206
	s_mov_b64 exec, s[36:37]                                   // 00000000CA4C: BEFE0124
	v_mov_b32_e32 v6, v63                                      // 00000000CA50: 7E0C033F
	s_mov_b64 s[60:61], 0                                      // 00000000CA54: BEBC0180
	v_readlane_b32 s82, v3, 22                                 // 00000000CA58: D2890052 00012D03
	s_and_b32 s82, s82, 0xffffff                               // 00000000CA60: 8652FF52 00FFFFFF
	s_cmp_lt_u32 s82, s66                                      // 00000000CA68: BF0A4252
	s_cselect_b32 s20, s36, s60                                // 00000000CA6C: 85143C24
	v_readlane_b32 s82, v3, 23                                 // 00000000CA70: D2890052 00012F03
	s_and_b32 s82, s82, 0xffffff                               // 00000000CA78: 8652FF52 00FFFFFF
	s_cmp_lt_u32 s82, s66                                      // 00000000CA80: BF0A4252
	s_cselect_b32 s21, s36, s60                                // 00000000CA84: 85153C24
	s_mov_b64 exec, s[20:21]                                   // 00000000CA88: BEFE0114
	global_atomic_add_f32 v6, v159, s[8:9] offset:8            // 00000000CA8C: DD348008 00089F06
	global_atomic_add_f32 v6, v163, s[8:9] offset:264          // 00000000CA94: DD348108 0008A306
	s_mov_b64 exec, s[36:37]                                   // 00000000CA9C: BEFE0124
	s_branch label_282C                                        // 00000000CAA0: BF820000

000000000000caa4 <label_282C>:
	s_waitcnt vmcnt(0) expcnt(0) lgkmcnt(0)                    // 00000000CAA4: BF8C0000
	s_endpgm                                                   // 00000000CAA8: BF810000
